;; amdgpu-corpus repo=ROCm/rocBLAS kind=compiled arch=gfx1250 opt=O3
	.amdgcn_target "amdgcn-amd-amdhsa--gfx1250"
	.amdhsa_code_object_version 6
	.section	.text._ZL26rocblas_dgmm_gfx942_kernelILi32ELi32ELb0EPKfPfEviiT2_lllS3_lllT3_lll,"axG",@progbits,_ZL26rocblas_dgmm_gfx942_kernelILi32ELi32ELb0EPKfPfEviiT2_lllS3_lllT3_lll,comdat
	.globl	_ZL26rocblas_dgmm_gfx942_kernelILi32ELi32ELb0EPKfPfEviiT2_lllS3_lllT3_lll ; -- Begin function _ZL26rocblas_dgmm_gfx942_kernelILi32ELi32ELb0EPKfPfEviiT2_lllS3_lllT3_lll
	.p2align	8
	.type	_ZL26rocblas_dgmm_gfx942_kernelILi32ELi32ELb0EPKfPfEviiT2_lllS3_lllT3_lll,@function
_ZL26rocblas_dgmm_gfx942_kernelILi32ELi32ELb0EPKfPfEviiT2_lllS3_lllT3_lll: ; @_ZL26rocblas_dgmm_gfx942_kernelILi32ELi32ELb0EPKfPfEviiT2_lllS3_lllT3_lll
; %bb.0:
	s_endpgm
	.section	.rodata,"a",@progbits
	.p2align	6, 0x0
	.amdhsa_kernel _ZL26rocblas_dgmm_gfx942_kernelILi32ELi32ELb0EPKfPfEviiT2_lllS3_lllT3_lll
		.amdhsa_group_segment_fixed_size 0
		.amdhsa_private_segment_fixed_size 0
		.amdhsa_kernarg_size 104
		.amdhsa_user_sgpr_count 2
		.amdhsa_user_sgpr_dispatch_ptr 0
		.amdhsa_user_sgpr_queue_ptr 0
		.amdhsa_user_sgpr_kernarg_segment_ptr 1
		.amdhsa_user_sgpr_dispatch_id 0
		.amdhsa_user_sgpr_kernarg_preload_length 0
		.amdhsa_user_sgpr_kernarg_preload_offset 0
		.amdhsa_user_sgpr_private_segment_size 0
		.amdhsa_wavefront_size32 1
		.amdhsa_uses_dynamic_stack 0
		.amdhsa_enable_private_segment 0
		.amdhsa_system_sgpr_workgroup_id_x 1
		.amdhsa_system_sgpr_workgroup_id_y 0
		.amdhsa_system_sgpr_workgroup_id_z 0
		.amdhsa_system_sgpr_workgroup_info 0
		.amdhsa_system_vgpr_workitem_id 0
		.amdhsa_next_free_vgpr 1
		.amdhsa_next_free_sgpr 1
		.amdhsa_named_barrier_count 0
		.amdhsa_reserve_vcc 0
		.amdhsa_float_round_mode_32 0
		.amdhsa_float_round_mode_16_64 0
		.amdhsa_float_denorm_mode_32 3
		.amdhsa_float_denorm_mode_16_64 3
		.amdhsa_fp16_overflow 0
		.amdhsa_memory_ordered 1
		.amdhsa_forward_progress 1
		.amdhsa_inst_pref_size 1
		.amdhsa_round_robin_scheduling 0
		.amdhsa_exception_fp_ieee_invalid_op 0
		.amdhsa_exception_fp_denorm_src 0
		.amdhsa_exception_fp_ieee_div_zero 0
		.amdhsa_exception_fp_ieee_overflow 0
		.amdhsa_exception_fp_ieee_underflow 0
		.amdhsa_exception_fp_ieee_inexact 0
		.amdhsa_exception_int_div_zero 0
	.end_amdhsa_kernel
	.section	.text._ZL26rocblas_dgmm_gfx942_kernelILi32ELi32ELb0EPKfPfEviiT2_lllS3_lllT3_lll,"axG",@progbits,_ZL26rocblas_dgmm_gfx942_kernelILi32ELi32ELb0EPKfPfEviiT2_lllS3_lllT3_lll,comdat
.Lfunc_end0:
	.size	_ZL26rocblas_dgmm_gfx942_kernelILi32ELi32ELb0EPKfPfEviiT2_lllS3_lllT3_lll, .Lfunc_end0-_ZL26rocblas_dgmm_gfx942_kernelILi32ELi32ELb0EPKfPfEviiT2_lllS3_lllT3_lll
                                        ; -- End function
	.set _ZL26rocblas_dgmm_gfx942_kernelILi32ELi32ELb0EPKfPfEviiT2_lllS3_lllT3_lll.num_vgpr, 0
	.set _ZL26rocblas_dgmm_gfx942_kernelILi32ELi32ELb0EPKfPfEviiT2_lllS3_lllT3_lll.num_agpr, 0
	.set _ZL26rocblas_dgmm_gfx942_kernelILi32ELi32ELb0EPKfPfEviiT2_lllS3_lllT3_lll.numbered_sgpr, 0
	.set _ZL26rocblas_dgmm_gfx942_kernelILi32ELi32ELb0EPKfPfEviiT2_lllS3_lllT3_lll.num_named_barrier, 0
	.set _ZL26rocblas_dgmm_gfx942_kernelILi32ELi32ELb0EPKfPfEviiT2_lllS3_lllT3_lll.private_seg_size, 0
	.set _ZL26rocblas_dgmm_gfx942_kernelILi32ELi32ELb0EPKfPfEviiT2_lllS3_lllT3_lll.uses_vcc, 0
	.set _ZL26rocblas_dgmm_gfx942_kernelILi32ELi32ELb0EPKfPfEviiT2_lllS3_lllT3_lll.uses_flat_scratch, 0
	.set _ZL26rocblas_dgmm_gfx942_kernelILi32ELi32ELb0EPKfPfEviiT2_lllS3_lllT3_lll.has_dyn_sized_stack, 0
	.set _ZL26rocblas_dgmm_gfx942_kernelILi32ELi32ELb0EPKfPfEviiT2_lllS3_lllT3_lll.has_recursion, 0
	.set _ZL26rocblas_dgmm_gfx942_kernelILi32ELi32ELb0EPKfPfEviiT2_lllS3_lllT3_lll.has_indirect_call, 0
	.section	.AMDGPU.csdata,"",@progbits
; Kernel info:
; codeLenInByte = 4
; TotalNumSgprs: 0
; NumVgprs: 0
; ScratchSize: 0
; MemoryBound: 0
; FloatMode: 240
; IeeeMode: 1
; LDSByteSize: 0 bytes/workgroup (compile time only)
; SGPRBlocks: 0
; VGPRBlocks: 0
; NumSGPRsForWavesPerEU: 1
; NumVGPRsForWavesPerEU: 1
; NamedBarCnt: 0
; Occupancy: 16
; WaveLimiterHint : 0
; COMPUTE_PGM_RSRC2:SCRATCH_EN: 0
; COMPUTE_PGM_RSRC2:USER_SGPR: 2
; COMPUTE_PGM_RSRC2:TRAP_HANDLER: 0
; COMPUTE_PGM_RSRC2:TGID_X_EN: 1
; COMPUTE_PGM_RSRC2:TGID_Y_EN: 0
; COMPUTE_PGM_RSRC2:TGID_Z_EN: 0
; COMPUTE_PGM_RSRC2:TIDIG_COMP_CNT: 0
	.section	.text._ZL19rocblas_dgmm_kernelILi16ELi16ELb0EPKfPfEviiT2_lllS3_lllT3_llli,"axG",@progbits,_ZL19rocblas_dgmm_kernelILi16ELi16ELb0EPKfPfEviiT2_lllS3_lllT3_llli,comdat
	.globl	_ZL19rocblas_dgmm_kernelILi16ELi16ELb0EPKfPfEviiT2_lllS3_lllT3_llli ; -- Begin function _ZL19rocblas_dgmm_kernelILi16ELi16ELb0EPKfPfEviiT2_lllS3_lllT3_llli
	.p2align	8
	.type	_ZL19rocblas_dgmm_kernelILi16ELi16ELb0EPKfPfEviiT2_lllS3_lllT3_llli,@function
_ZL19rocblas_dgmm_kernelILi16ELi16ELb0EPKfPfEviiT2_lllS3_lllT3_llli: ; @_ZL19rocblas_dgmm_kernelILi16ELi16ELb0EPKfPfEviiT2_lllS3_lllT3_llli
; %bb.0:
	s_load_b32 s30, s[0:1], 0x68
	s_bfe_u32 s2, ttmp6, 0x40014
	s_lshr_b32 s3, ttmp7, 16
	s_add_co_i32 s2, s2, 1
	s_bfe_u32 s5, ttmp6, 0x40008
	s_mul_i32 s4, s3, s2
	s_getreg_b32 s2, hwreg(HW_REG_IB_STS2, 6, 4)
	s_add_co_i32 s5, s5, s4
	s_cmp_eq_u32 s2, 0
	s_mov_b32 s29, 0
	s_cselect_b32 s28, s3, s5
	s_wait_kmcnt 0x0
	s_cmp_ge_u32 s28, s30
	s_cbranch_scc1 .LBB1_6
; %bb.1:
	s_bfe_u32 s3, ttmp6, 0x40010
	s_bfe_u32 s20, ttmp6, 0x4000c
	s_load_b512 s[4:19], s[0:1], 0x8
	s_and_b32 s31, ttmp7, 0xffff
	s_add_co_i32 s3, s3, 1
	s_add_co_i32 s20, s20, 1
	s_mul_i32 s3, s31, s3
	s_bfe_u32 s21, ttmp6, 0x40004
	s_and_b32 s22, ttmp6, 15
	s_mul_i32 s20, ttmp9, s20
	s_add_co_i32 s33, s21, s3
	s_add_co_i32 s22, s22, s20
	v_and_b32_e32 v1, 0x3ff, v0
	s_cmp_eq_u32 s2, 0
	v_bfe_u32 v0, v0, 10, 10
	s_cselect_b32 s2, ttmp9, s22
	s_load_b256 s[20:27], s[0:1], 0x48
	v_lshl_add_u32 v2, s2, 4, v1
	s_load_b64 s[2:3], s[0:1], 0x0
	s_wait_xcnt 0x0
	s_add_nc_u64 s[0:1], s[0:1], 0x70
	s_delay_alu instid0(VALU_DEP_1) | instskip(SKIP_1) | instid1(VALU_DEP_1)
	v_ashrrev_i32_e32 v3, 31, v2
	s_wait_kmcnt 0x0
	v_mul_u64_e32 v[4:5], s[16:17], v[2:3]
	s_cselect_b32 s16, s31, s33
	s_lshl_b64 s[6:7], s[6:7], 2
	v_lshl_add_u32 v14, s16, 4, v0
	s_add_nc_u64 s[4:5], s[4:5], s[6:7]
	s_lshl_b64 s[6:7], s[14:15], 2
	s_delay_alu instid0(SALU_CYCLE_1)
	s_add_nc_u64 s[6:7], s[12:13], s[6:7]
	s_lshl_b64 s[14:15], s[22:23], 2
	v_cmp_gt_i32_e32 vcc_lo, s2, v2
	v_lshlrev_b64_e32 v[2:3], 2, v[2:3]
	s_add_nc_u64 s[12:13], s[20:21], s[14:15]
	v_cmp_gt_i32_e64 s2, s3, v14
	s_delay_alu instid0(VALU_DEP_2)
	v_add_nc_u64_e32 v[0:1], s[4:5], v[2:3]
	v_add_nc_u64_e32 v[2:3], s[12:13], v[2:3]
	s_and_b32 s2, vcc_lo, s2
	v_lshl_add_u64 v[4:5], v[4:5], 2, s[6:7]
	s_branch .LBB1_3
.LBB1_2:                                ;   in Loop: Header=BB1_3 Depth=1
	s_or_b32 exec_lo, exec_lo, s4
	s_add_co_i32 s28, s28, 0x10000
	s_delay_alu instid0(SALU_CYCLE_1)
	s_cmp_ge_u32 s28, s30
	s_cbranch_scc1 .LBB1_6
.LBB1_3:                                ; =>This Loop Header: Depth=1
                                        ;     Child Loop BB1_5 Depth 2
	s_and_saveexec_b32 s4, s2
	s_cbranch_execz .LBB1_2
; %bb.4:                                ;   in Loop: Header=BB1_3 Depth=1
	s_load_b32 s5, s[0:1], 0x4
	s_mul_u64 s[6:7], s[10:11], s[28:29]
	s_mul_u64 s[12:13], s[18:19], s[28:29]
	;; [unrolled: 1-line block ×3, first 2 shown]
	v_mov_b32_e32 v6, v14
	v_lshl_add_u64 v[8:9], s[6:7], 2, v[0:1]
	v_lshl_add_u64 v[10:11], s[12:13], 2, v[4:5]
	;; [unrolled: 1-line block ×3, first 2 shown]
	s_mov_b32 s6, 0
	s_wait_kmcnt 0x0
	s_lshl_b32 s5, s5, 4
.LBB1_5:                                ;   Parent Loop BB1_3 Depth=1
                                        ; =>  This Inner Loop Header: Depth=2
	v_ashrrev_i32_e32 v7, 31, v6
	s_delay_alu instid0(VALU_DEP_1) | instskip(NEXT) | instid1(VALU_DEP_1)
	v_mul_u64_e32 v[16:17], s[8:9], v[6:7]
	v_lshl_add_u64 v[16:17], v[16:17], 2, v[8:9]
	global_load_b32 v15, v[10:11], off
	global_load_b32 v18, v[16:17], off
	s_wait_xcnt 0x0
	v_mul_u64_e32 v[16:17], s[24:25], v[6:7]
	v_add_nc_u32_e32 v6, s5, v6
	s_delay_alu instid0(VALU_DEP_1) | instskip(SKIP_1) | instid1(VALU_DEP_3)
	v_cmp_le_i32_e32 vcc_lo, s3, v6
	s_or_b32 s6, vcc_lo, s6
	v_lshl_add_u64 v[16:17], v[16:17], 2, v[12:13]
	s_wait_loadcnt 0x0
	v_mul_f32_e32 v7, v18, v15
	global_store_b32 v[16:17], v7, off
	s_wait_xcnt 0x0
	s_and_not1_b32 exec_lo, exec_lo, s6
	s_cbranch_execnz .LBB1_5
	s_branch .LBB1_2
.LBB1_6:
	s_endpgm
	.section	.rodata,"a",@progbits
	.p2align	6, 0x0
	.amdhsa_kernel _ZL19rocblas_dgmm_kernelILi16ELi16ELb0EPKfPfEviiT2_lllS3_lllT3_llli
		.amdhsa_group_segment_fixed_size 0
		.amdhsa_private_segment_fixed_size 0
		.amdhsa_kernarg_size 368
		.amdhsa_user_sgpr_count 2
		.amdhsa_user_sgpr_dispatch_ptr 0
		.amdhsa_user_sgpr_queue_ptr 0
		.amdhsa_user_sgpr_kernarg_segment_ptr 1
		.amdhsa_user_sgpr_dispatch_id 0
		.amdhsa_user_sgpr_kernarg_preload_length 0
		.amdhsa_user_sgpr_kernarg_preload_offset 0
		.amdhsa_user_sgpr_private_segment_size 0
		.amdhsa_wavefront_size32 1
		.amdhsa_uses_dynamic_stack 0
		.amdhsa_enable_private_segment 0
		.amdhsa_system_sgpr_workgroup_id_x 1
		.amdhsa_system_sgpr_workgroup_id_y 1
		.amdhsa_system_sgpr_workgroup_id_z 1
		.amdhsa_system_sgpr_workgroup_info 0
		.amdhsa_system_vgpr_workitem_id 1
		.amdhsa_next_free_vgpr 19
		.amdhsa_next_free_sgpr 34
		.amdhsa_named_barrier_count 0
		.amdhsa_reserve_vcc 1
		.amdhsa_float_round_mode_32 0
		.amdhsa_float_round_mode_16_64 0
		.amdhsa_float_denorm_mode_32 3
		.amdhsa_float_denorm_mode_16_64 3
		.amdhsa_fp16_overflow 0
		.amdhsa_memory_ordered 1
		.amdhsa_forward_progress 1
		.amdhsa_inst_pref_size 4
		.amdhsa_round_robin_scheduling 0
		.amdhsa_exception_fp_ieee_invalid_op 0
		.amdhsa_exception_fp_denorm_src 0
		.amdhsa_exception_fp_ieee_div_zero 0
		.amdhsa_exception_fp_ieee_overflow 0
		.amdhsa_exception_fp_ieee_underflow 0
		.amdhsa_exception_fp_ieee_inexact 0
		.amdhsa_exception_int_div_zero 0
	.end_amdhsa_kernel
	.section	.text._ZL19rocblas_dgmm_kernelILi16ELi16ELb0EPKfPfEviiT2_lllS3_lllT3_llli,"axG",@progbits,_ZL19rocblas_dgmm_kernelILi16ELi16ELb0EPKfPfEviiT2_lllS3_lllT3_llli,comdat
.Lfunc_end1:
	.size	_ZL19rocblas_dgmm_kernelILi16ELi16ELb0EPKfPfEviiT2_lllS3_lllT3_llli, .Lfunc_end1-_ZL19rocblas_dgmm_kernelILi16ELi16ELb0EPKfPfEviiT2_lllS3_lllT3_llli
                                        ; -- End function
	.set _ZL19rocblas_dgmm_kernelILi16ELi16ELb0EPKfPfEviiT2_lllS3_lllT3_llli.num_vgpr, 19
	.set _ZL19rocblas_dgmm_kernelILi16ELi16ELb0EPKfPfEviiT2_lllS3_lllT3_llli.num_agpr, 0
	.set _ZL19rocblas_dgmm_kernelILi16ELi16ELb0EPKfPfEviiT2_lllS3_lllT3_llli.numbered_sgpr, 34
	.set _ZL19rocblas_dgmm_kernelILi16ELi16ELb0EPKfPfEviiT2_lllS3_lllT3_llli.num_named_barrier, 0
	.set _ZL19rocblas_dgmm_kernelILi16ELi16ELb0EPKfPfEviiT2_lllS3_lllT3_llli.private_seg_size, 0
	.set _ZL19rocblas_dgmm_kernelILi16ELi16ELb0EPKfPfEviiT2_lllS3_lllT3_llli.uses_vcc, 1
	.set _ZL19rocblas_dgmm_kernelILi16ELi16ELb0EPKfPfEviiT2_lllS3_lllT3_llli.uses_flat_scratch, 0
	.set _ZL19rocblas_dgmm_kernelILi16ELi16ELb0EPKfPfEviiT2_lllS3_lllT3_llli.has_dyn_sized_stack, 0
	.set _ZL19rocblas_dgmm_kernelILi16ELi16ELb0EPKfPfEviiT2_lllS3_lllT3_llli.has_recursion, 0
	.set _ZL19rocblas_dgmm_kernelILi16ELi16ELb0EPKfPfEviiT2_lllS3_lllT3_llli.has_indirect_call, 0
	.section	.AMDGPU.csdata,"",@progbits
; Kernel info:
; codeLenInByte = 504
; TotalNumSgprs: 36
; NumVgprs: 19
; ScratchSize: 0
; MemoryBound: 0
; FloatMode: 240
; IeeeMode: 1
; LDSByteSize: 0 bytes/workgroup (compile time only)
; SGPRBlocks: 0
; VGPRBlocks: 1
; NumSGPRsForWavesPerEU: 36
; NumVGPRsForWavesPerEU: 19
; NamedBarCnt: 0
; Occupancy: 16
; WaveLimiterHint : 0
; COMPUTE_PGM_RSRC2:SCRATCH_EN: 0
; COMPUTE_PGM_RSRC2:USER_SGPR: 2
; COMPUTE_PGM_RSRC2:TRAP_HANDLER: 0
; COMPUTE_PGM_RSRC2:TGID_X_EN: 1
; COMPUTE_PGM_RSRC2:TGID_Y_EN: 1
; COMPUTE_PGM_RSRC2:TGID_Z_EN: 1
; COMPUTE_PGM_RSRC2:TIDIG_COMP_CNT: 1
	.section	.text._ZL26rocblas_dgmm_gfx942_kernelILi32ELi32ELb1EPKfPfEviiT2_lllS3_lllT3_lll,"axG",@progbits,_ZL26rocblas_dgmm_gfx942_kernelILi32ELi32ELb1EPKfPfEviiT2_lllS3_lllT3_lll,comdat
	.globl	_ZL26rocblas_dgmm_gfx942_kernelILi32ELi32ELb1EPKfPfEviiT2_lllS3_lllT3_lll ; -- Begin function _ZL26rocblas_dgmm_gfx942_kernelILi32ELi32ELb1EPKfPfEviiT2_lllS3_lllT3_lll
	.p2align	8
	.type	_ZL26rocblas_dgmm_gfx942_kernelILi32ELi32ELb1EPKfPfEviiT2_lllS3_lllT3_lll,@function
_ZL26rocblas_dgmm_gfx942_kernelILi32ELi32ELb1EPKfPfEviiT2_lllS3_lllT3_lll: ; @_ZL26rocblas_dgmm_gfx942_kernelILi32ELi32ELb1EPKfPfEviiT2_lllS3_lllT3_lll
; %bb.0:
	s_endpgm
	.section	.rodata,"a",@progbits
	.p2align	6, 0x0
	.amdhsa_kernel _ZL26rocblas_dgmm_gfx942_kernelILi32ELi32ELb1EPKfPfEviiT2_lllS3_lllT3_lll
		.amdhsa_group_segment_fixed_size 0
		.amdhsa_private_segment_fixed_size 0
		.amdhsa_kernarg_size 104
		.amdhsa_user_sgpr_count 2
		.amdhsa_user_sgpr_dispatch_ptr 0
		.amdhsa_user_sgpr_queue_ptr 0
		.amdhsa_user_sgpr_kernarg_segment_ptr 1
		.amdhsa_user_sgpr_dispatch_id 0
		.amdhsa_user_sgpr_kernarg_preload_length 0
		.amdhsa_user_sgpr_kernarg_preload_offset 0
		.amdhsa_user_sgpr_private_segment_size 0
		.amdhsa_wavefront_size32 1
		.amdhsa_uses_dynamic_stack 0
		.amdhsa_enable_private_segment 0
		.amdhsa_system_sgpr_workgroup_id_x 1
		.amdhsa_system_sgpr_workgroup_id_y 0
		.amdhsa_system_sgpr_workgroup_id_z 0
		.amdhsa_system_sgpr_workgroup_info 0
		.amdhsa_system_vgpr_workitem_id 0
		.amdhsa_next_free_vgpr 1
		.amdhsa_next_free_sgpr 1
		.amdhsa_named_barrier_count 0
		.amdhsa_reserve_vcc 0
		.amdhsa_float_round_mode_32 0
		.amdhsa_float_round_mode_16_64 0
		.amdhsa_float_denorm_mode_32 3
		.amdhsa_float_denorm_mode_16_64 3
		.amdhsa_fp16_overflow 0
		.amdhsa_memory_ordered 1
		.amdhsa_forward_progress 1
		.amdhsa_inst_pref_size 1
		.amdhsa_round_robin_scheduling 0
		.amdhsa_exception_fp_ieee_invalid_op 0
		.amdhsa_exception_fp_denorm_src 0
		.amdhsa_exception_fp_ieee_div_zero 0
		.amdhsa_exception_fp_ieee_overflow 0
		.amdhsa_exception_fp_ieee_underflow 0
		.amdhsa_exception_fp_ieee_inexact 0
		.amdhsa_exception_int_div_zero 0
	.end_amdhsa_kernel
	.section	.text._ZL26rocblas_dgmm_gfx942_kernelILi32ELi32ELb1EPKfPfEviiT2_lllS3_lllT3_lll,"axG",@progbits,_ZL26rocblas_dgmm_gfx942_kernelILi32ELi32ELb1EPKfPfEviiT2_lllS3_lllT3_lll,comdat
.Lfunc_end2:
	.size	_ZL26rocblas_dgmm_gfx942_kernelILi32ELi32ELb1EPKfPfEviiT2_lllS3_lllT3_lll, .Lfunc_end2-_ZL26rocblas_dgmm_gfx942_kernelILi32ELi32ELb1EPKfPfEviiT2_lllS3_lllT3_lll
                                        ; -- End function
	.set _ZL26rocblas_dgmm_gfx942_kernelILi32ELi32ELb1EPKfPfEviiT2_lllS3_lllT3_lll.num_vgpr, 0
	.set _ZL26rocblas_dgmm_gfx942_kernelILi32ELi32ELb1EPKfPfEviiT2_lllS3_lllT3_lll.num_agpr, 0
	.set _ZL26rocblas_dgmm_gfx942_kernelILi32ELi32ELb1EPKfPfEviiT2_lllS3_lllT3_lll.numbered_sgpr, 0
	.set _ZL26rocblas_dgmm_gfx942_kernelILi32ELi32ELb1EPKfPfEviiT2_lllS3_lllT3_lll.num_named_barrier, 0
	.set _ZL26rocblas_dgmm_gfx942_kernelILi32ELi32ELb1EPKfPfEviiT2_lllS3_lllT3_lll.private_seg_size, 0
	.set _ZL26rocblas_dgmm_gfx942_kernelILi32ELi32ELb1EPKfPfEviiT2_lllS3_lllT3_lll.uses_vcc, 0
	.set _ZL26rocblas_dgmm_gfx942_kernelILi32ELi32ELb1EPKfPfEviiT2_lllS3_lllT3_lll.uses_flat_scratch, 0
	.set _ZL26rocblas_dgmm_gfx942_kernelILi32ELi32ELb1EPKfPfEviiT2_lllS3_lllT3_lll.has_dyn_sized_stack, 0
	.set _ZL26rocblas_dgmm_gfx942_kernelILi32ELi32ELb1EPKfPfEviiT2_lllS3_lllT3_lll.has_recursion, 0
	.set _ZL26rocblas_dgmm_gfx942_kernelILi32ELi32ELb1EPKfPfEviiT2_lllS3_lllT3_lll.has_indirect_call, 0
	.section	.AMDGPU.csdata,"",@progbits
; Kernel info:
; codeLenInByte = 4
; TotalNumSgprs: 0
; NumVgprs: 0
; ScratchSize: 0
; MemoryBound: 0
; FloatMode: 240
; IeeeMode: 1
; LDSByteSize: 0 bytes/workgroup (compile time only)
; SGPRBlocks: 0
; VGPRBlocks: 0
; NumSGPRsForWavesPerEU: 1
; NumVGPRsForWavesPerEU: 1
; NamedBarCnt: 0
; Occupancy: 16
; WaveLimiterHint : 0
; COMPUTE_PGM_RSRC2:SCRATCH_EN: 0
; COMPUTE_PGM_RSRC2:USER_SGPR: 2
; COMPUTE_PGM_RSRC2:TRAP_HANDLER: 0
; COMPUTE_PGM_RSRC2:TGID_X_EN: 1
; COMPUTE_PGM_RSRC2:TGID_Y_EN: 0
; COMPUTE_PGM_RSRC2:TGID_Z_EN: 0
; COMPUTE_PGM_RSRC2:TIDIG_COMP_CNT: 0
	.section	.text._ZL19rocblas_dgmm_kernelILi16ELi16ELb1EPKfPfEviiT2_lllS3_lllT3_llli,"axG",@progbits,_ZL19rocblas_dgmm_kernelILi16ELi16ELb1EPKfPfEviiT2_lllS3_lllT3_llli,comdat
	.globl	_ZL19rocblas_dgmm_kernelILi16ELi16ELb1EPKfPfEviiT2_lllS3_lllT3_llli ; -- Begin function _ZL19rocblas_dgmm_kernelILi16ELi16ELb1EPKfPfEviiT2_lllS3_lllT3_llli
	.p2align	8
	.type	_ZL19rocblas_dgmm_kernelILi16ELi16ELb1EPKfPfEviiT2_lllS3_lllT3_llli,@function
_ZL19rocblas_dgmm_kernelILi16ELi16ELb1EPKfPfEviiT2_lllS3_lllT3_llli: ; @_ZL19rocblas_dgmm_kernelILi16ELi16ELb1EPKfPfEviiT2_lllS3_lllT3_llli
; %bb.0:
	s_load_b32 s30, s[0:1], 0x68
	s_bfe_u32 s2, ttmp6, 0x40014
	s_lshr_b32 s3, ttmp7, 16
	s_add_co_i32 s2, s2, 1
	s_bfe_u32 s4, ttmp6, 0x40008
	s_mul_i32 s2, s3, s2
	s_getreg_b32 s31, hwreg(HW_REG_IB_STS2, 6, 4)
	s_add_co_i32 s4, s4, s2
	s_cmp_eq_u32 s31, 0
	s_mov_b32 s29, 0
	s_cselect_b32 s28, s3, s4
	s_wait_kmcnt 0x0
	s_cmp_ge_u32 s28, s30
	s_cbranch_scc1 .LBB3_6
; %bb.1:
	s_bfe_u32 s20, ttmp6, 0x40010
	s_bfe_u32 s35, ttmp6, 0x4000c
	s_and_b32 s33, ttmp7, 0xffff
	s_add_co_i32 s34, s20, 1
	s_add_co_i32 s35, s35, 1
	s_clause 0x2
	s_load_b64 s[2:3], s[0:1], 0x0
	s_load_b512 s[4:19], s[0:1], 0x8
	s_load_b256 s[20:27], s[0:1], 0x48
	s_mul_i32 s34, s33, s34
	s_bfe_u32 s36, ttmp6, 0x40004
	s_and_b32 s37, ttmp6, 15
	s_mul_i32 s35, ttmp9, s35
	s_add_co_i32 s36, s36, s34
	s_add_co_i32 s37, s37, s35
	v_and_b32_e32 v1, 0x3ff, v0
	s_cmp_eq_u32 s31, 0
	v_bfe_u32 v0, v0, 10, 10
	s_cselect_b32 s31, ttmp9, s37
	s_wait_xcnt 0x0
	s_add_nc_u64 s[0:1], s[0:1], 0x70
	v_lshl_add_u32 v2, s31, 4, v1
	s_cselect_b32 s31, s33, s36
	s_delay_alu instid0(SALU_CYCLE_1) | instskip(NEXT) | instid1(VALU_DEP_2)
	v_lshl_add_u32 v10, s31, 4, v0
	v_ashrrev_i32_e32 v3, 31, v2
	s_wait_kmcnt 0x0
	v_cmp_gt_i32_e32 vcc_lo, s2, v2
	s_lshl_b64 s[6:7], s[6:7], 2
	s_lshl_b64 s[22:23], s[22:23], 2
	s_add_nc_u64 s[4:5], s[4:5], s[6:7]
	v_lshlrev_b64_e32 v[4:5], 2, v[2:3]
	s_add_nc_u64 s[6:7], s[20:21], s[22:23]
	v_cmp_gt_i32_e64 s2, s3, v10
	s_delay_alu instid0(VALU_DEP_2)
	v_add_nc_u64_e32 v[0:1], s[4:5], v[4:5]
	v_add_nc_u64_e32 v[2:3], s[6:7], v[4:5]
	s_lshl_b64 s[4:5], s[14:15], 2
	s_and_b32 s2, vcc_lo, s2
	s_add_nc_u64 s[4:5], s[12:13], s[4:5]
	s_branch .LBB3_3
.LBB3_2:                                ;   in Loop: Header=BB3_3 Depth=1
	s_or_b32 exec_lo, exec_lo, s12
	s_add_co_i32 s28, s28, 0x10000
	s_delay_alu instid0(SALU_CYCLE_1)
	s_cmp_ge_u32 s28, s30
	s_cbranch_scc1 .LBB3_6
.LBB3_3:                                ; =>This Loop Header: Depth=1
                                        ;     Child Loop BB3_5 Depth 2
	s_and_saveexec_b32 s12, s2
	s_cbranch_execz .LBB3_2
; %bb.4:                                ;   in Loop: Header=BB3_3 Depth=1
	s_load_b32 s13, s[0:1], 0x4
	s_mul_u64 s[6:7], s[10:11], s[28:29]
	s_mul_u64 s[20:21], s[26:27], s[28:29]
	;; [unrolled: 1-line block ×3, first 2 shown]
	v_mov_b32_e32 v4, v10
	v_lshl_add_u64 v[6:7], s[6:7], 2, v[0:1]
	v_lshl_add_u64 v[8:9], s[20:21], 2, v[2:3]
	s_lshl_b64 s[14:15], s[14:15], 2
	s_delay_alu instid0(SALU_CYCLE_1)
	s_add_nc_u64 s[6:7], s[4:5], s[14:15]
	s_mov_b32 s14, 0
	s_wait_kmcnt 0x0
	s_lshl_b32 s13, s13, 4
.LBB3_5:                                ;   Parent Loop BB3_3 Depth=1
                                        ; =>  This Inner Loop Header: Depth=2
	v_ashrrev_i32_e32 v5, 31, v4
	s_delay_alu instid0(VALU_DEP_1) | instskip(SKIP_1) | instid1(VALU_DEP_2)
	v_mul_u64_e32 v[12:13], s[8:9], v[4:5]
	v_mul_u64_e32 v[14:15], s[16:17], v[4:5]
	v_lshl_add_u64 v[12:13], v[12:13], 2, v[6:7]
	s_delay_alu instid0(VALU_DEP_2)
	v_lshl_add_u64 v[14:15], v[14:15], 2, s[6:7]
	global_load_b32 v11, v[12:13], off
	global_load_b32 v16, v[14:15], off
	s_wait_xcnt 0x1
	v_mul_u64_e32 v[12:13], s[24:25], v[4:5]
	v_add_nc_u32_e32 v4, s13, v4
	s_delay_alu instid0(VALU_DEP_1) | instskip(SKIP_1) | instid1(VALU_DEP_3)
	v_cmp_le_i32_e32 vcc_lo, s3, v4
	s_or_b32 s14, vcc_lo, s14
	v_lshl_add_u64 v[12:13], v[12:13], 2, v[8:9]
	s_wait_loadcnt 0x0
	v_mul_f32_e32 v5, v11, v16
	global_store_b32 v[12:13], v5, off
	s_wait_xcnt 0x0
	s_and_not1_b32 exec_lo, exec_lo, s14
	s_cbranch_execnz .LBB3_5
	s_branch .LBB3_2
.LBB3_6:
	s_endpgm
	.section	.rodata,"a",@progbits
	.p2align	6, 0x0
	.amdhsa_kernel _ZL19rocblas_dgmm_kernelILi16ELi16ELb1EPKfPfEviiT2_lllS3_lllT3_llli
		.amdhsa_group_segment_fixed_size 0
		.amdhsa_private_segment_fixed_size 0
		.amdhsa_kernarg_size 368
		.amdhsa_user_sgpr_count 2
		.amdhsa_user_sgpr_dispatch_ptr 0
		.amdhsa_user_sgpr_queue_ptr 0
		.amdhsa_user_sgpr_kernarg_segment_ptr 1
		.amdhsa_user_sgpr_dispatch_id 0
		.amdhsa_user_sgpr_kernarg_preload_length 0
		.amdhsa_user_sgpr_kernarg_preload_offset 0
		.amdhsa_user_sgpr_private_segment_size 0
		.amdhsa_wavefront_size32 1
		.amdhsa_uses_dynamic_stack 0
		.amdhsa_enable_private_segment 0
		.amdhsa_system_sgpr_workgroup_id_x 1
		.amdhsa_system_sgpr_workgroup_id_y 1
		.amdhsa_system_sgpr_workgroup_id_z 1
		.amdhsa_system_sgpr_workgroup_info 0
		.amdhsa_system_vgpr_workitem_id 1
		.amdhsa_next_free_vgpr 17
		.amdhsa_next_free_sgpr 38
		.amdhsa_named_barrier_count 0
		.amdhsa_reserve_vcc 1
		.amdhsa_float_round_mode_32 0
		.amdhsa_float_round_mode_16_64 0
		.amdhsa_float_denorm_mode_32 3
		.amdhsa_float_denorm_mode_16_64 3
		.amdhsa_fp16_overflow 0
		.amdhsa_memory_ordered 1
		.amdhsa_forward_progress 1
		.amdhsa_inst_pref_size 4
		.amdhsa_round_robin_scheduling 0
		.amdhsa_exception_fp_ieee_invalid_op 0
		.amdhsa_exception_fp_denorm_src 0
		.amdhsa_exception_fp_ieee_div_zero 0
		.amdhsa_exception_fp_ieee_overflow 0
		.amdhsa_exception_fp_ieee_underflow 0
		.amdhsa_exception_fp_ieee_inexact 0
		.amdhsa_exception_int_div_zero 0
	.end_amdhsa_kernel
	.section	.text._ZL19rocblas_dgmm_kernelILi16ELi16ELb1EPKfPfEviiT2_lllS3_lllT3_llli,"axG",@progbits,_ZL19rocblas_dgmm_kernelILi16ELi16ELb1EPKfPfEviiT2_lllS3_lllT3_llli,comdat
.Lfunc_end3:
	.size	_ZL19rocblas_dgmm_kernelILi16ELi16ELb1EPKfPfEviiT2_lllS3_lllT3_llli, .Lfunc_end3-_ZL19rocblas_dgmm_kernelILi16ELi16ELb1EPKfPfEviiT2_lllS3_lllT3_llli
                                        ; -- End function
	.set _ZL19rocblas_dgmm_kernelILi16ELi16ELb1EPKfPfEviiT2_lllS3_lllT3_llli.num_vgpr, 17
	.set _ZL19rocblas_dgmm_kernelILi16ELi16ELb1EPKfPfEviiT2_lllS3_lllT3_llli.num_agpr, 0
	.set _ZL19rocblas_dgmm_kernelILi16ELi16ELb1EPKfPfEviiT2_lllS3_lllT3_llli.numbered_sgpr, 38
	.set _ZL19rocblas_dgmm_kernelILi16ELi16ELb1EPKfPfEviiT2_lllS3_lllT3_llli.num_named_barrier, 0
	.set _ZL19rocblas_dgmm_kernelILi16ELi16ELb1EPKfPfEviiT2_lllS3_lllT3_llli.private_seg_size, 0
	.set _ZL19rocblas_dgmm_kernelILi16ELi16ELb1EPKfPfEviiT2_lllS3_lllT3_llli.uses_vcc, 1
	.set _ZL19rocblas_dgmm_kernelILi16ELi16ELb1EPKfPfEviiT2_lllS3_lllT3_llli.uses_flat_scratch, 0
	.set _ZL19rocblas_dgmm_kernelILi16ELi16ELb1EPKfPfEviiT2_lllS3_lllT3_llli.has_dyn_sized_stack, 0
	.set _ZL19rocblas_dgmm_kernelILi16ELi16ELb1EPKfPfEviiT2_lllS3_lllT3_llli.has_recursion, 0
	.set _ZL19rocblas_dgmm_kernelILi16ELi16ELb1EPKfPfEviiT2_lllS3_lllT3_llli.has_indirect_call, 0
	.section	.AMDGPU.csdata,"",@progbits
; Kernel info:
; codeLenInByte = 512
; TotalNumSgprs: 40
; NumVgprs: 17
; ScratchSize: 0
; MemoryBound: 0
; FloatMode: 240
; IeeeMode: 1
; LDSByteSize: 0 bytes/workgroup (compile time only)
; SGPRBlocks: 0
; VGPRBlocks: 1
; NumSGPRsForWavesPerEU: 40
; NumVGPRsForWavesPerEU: 17
; NamedBarCnt: 0
; Occupancy: 16
; WaveLimiterHint : 0
; COMPUTE_PGM_RSRC2:SCRATCH_EN: 0
; COMPUTE_PGM_RSRC2:USER_SGPR: 2
; COMPUTE_PGM_RSRC2:TRAP_HANDLER: 0
; COMPUTE_PGM_RSRC2:TGID_X_EN: 1
; COMPUTE_PGM_RSRC2:TGID_Y_EN: 1
; COMPUTE_PGM_RSRC2:TGID_Z_EN: 1
; COMPUTE_PGM_RSRC2:TIDIG_COMP_CNT: 1
	.section	.text._ZL26rocblas_dgmm_gfx942_kernelILi32ELi32ELb0EPKdPdEviiT2_lllS3_lllT3_lll,"axG",@progbits,_ZL26rocblas_dgmm_gfx942_kernelILi32ELi32ELb0EPKdPdEviiT2_lllS3_lllT3_lll,comdat
	.globl	_ZL26rocblas_dgmm_gfx942_kernelILi32ELi32ELb0EPKdPdEviiT2_lllS3_lllT3_lll ; -- Begin function _ZL26rocblas_dgmm_gfx942_kernelILi32ELi32ELb0EPKdPdEviiT2_lllS3_lllT3_lll
	.p2align	8
	.type	_ZL26rocblas_dgmm_gfx942_kernelILi32ELi32ELb0EPKdPdEviiT2_lllS3_lllT3_lll,@function
_ZL26rocblas_dgmm_gfx942_kernelILi32ELi32ELb0EPKdPdEviiT2_lllS3_lllT3_lll: ; @_ZL26rocblas_dgmm_gfx942_kernelILi32ELi32ELb0EPKdPdEviiT2_lllS3_lllT3_lll
; %bb.0:
	s_endpgm
	.section	.rodata,"a",@progbits
	.p2align	6, 0x0
	.amdhsa_kernel _ZL26rocblas_dgmm_gfx942_kernelILi32ELi32ELb0EPKdPdEviiT2_lllS3_lllT3_lll
		.amdhsa_group_segment_fixed_size 0
		.amdhsa_private_segment_fixed_size 0
		.amdhsa_kernarg_size 104
		.amdhsa_user_sgpr_count 2
		.amdhsa_user_sgpr_dispatch_ptr 0
		.amdhsa_user_sgpr_queue_ptr 0
		.amdhsa_user_sgpr_kernarg_segment_ptr 1
		.amdhsa_user_sgpr_dispatch_id 0
		.amdhsa_user_sgpr_kernarg_preload_length 0
		.amdhsa_user_sgpr_kernarg_preload_offset 0
		.amdhsa_user_sgpr_private_segment_size 0
		.amdhsa_wavefront_size32 1
		.amdhsa_uses_dynamic_stack 0
		.amdhsa_enable_private_segment 0
		.amdhsa_system_sgpr_workgroup_id_x 1
		.amdhsa_system_sgpr_workgroup_id_y 0
		.amdhsa_system_sgpr_workgroup_id_z 0
		.amdhsa_system_sgpr_workgroup_info 0
		.amdhsa_system_vgpr_workitem_id 0
		.amdhsa_next_free_vgpr 1
		.amdhsa_next_free_sgpr 1
		.amdhsa_named_barrier_count 0
		.amdhsa_reserve_vcc 0
		.amdhsa_float_round_mode_32 0
		.amdhsa_float_round_mode_16_64 0
		.amdhsa_float_denorm_mode_32 3
		.amdhsa_float_denorm_mode_16_64 3
		.amdhsa_fp16_overflow 0
		.amdhsa_memory_ordered 1
		.amdhsa_forward_progress 1
		.amdhsa_inst_pref_size 1
		.amdhsa_round_robin_scheduling 0
		.amdhsa_exception_fp_ieee_invalid_op 0
		.amdhsa_exception_fp_denorm_src 0
		.amdhsa_exception_fp_ieee_div_zero 0
		.amdhsa_exception_fp_ieee_overflow 0
		.amdhsa_exception_fp_ieee_underflow 0
		.amdhsa_exception_fp_ieee_inexact 0
		.amdhsa_exception_int_div_zero 0
	.end_amdhsa_kernel
	.section	.text._ZL26rocblas_dgmm_gfx942_kernelILi32ELi32ELb0EPKdPdEviiT2_lllS3_lllT3_lll,"axG",@progbits,_ZL26rocblas_dgmm_gfx942_kernelILi32ELi32ELb0EPKdPdEviiT2_lllS3_lllT3_lll,comdat
.Lfunc_end4:
	.size	_ZL26rocblas_dgmm_gfx942_kernelILi32ELi32ELb0EPKdPdEviiT2_lllS3_lllT3_lll, .Lfunc_end4-_ZL26rocblas_dgmm_gfx942_kernelILi32ELi32ELb0EPKdPdEviiT2_lllS3_lllT3_lll
                                        ; -- End function
	.set _ZL26rocblas_dgmm_gfx942_kernelILi32ELi32ELb0EPKdPdEviiT2_lllS3_lllT3_lll.num_vgpr, 0
	.set _ZL26rocblas_dgmm_gfx942_kernelILi32ELi32ELb0EPKdPdEviiT2_lllS3_lllT3_lll.num_agpr, 0
	.set _ZL26rocblas_dgmm_gfx942_kernelILi32ELi32ELb0EPKdPdEviiT2_lllS3_lllT3_lll.numbered_sgpr, 0
	.set _ZL26rocblas_dgmm_gfx942_kernelILi32ELi32ELb0EPKdPdEviiT2_lllS3_lllT3_lll.num_named_barrier, 0
	.set _ZL26rocblas_dgmm_gfx942_kernelILi32ELi32ELb0EPKdPdEviiT2_lllS3_lllT3_lll.private_seg_size, 0
	.set _ZL26rocblas_dgmm_gfx942_kernelILi32ELi32ELb0EPKdPdEviiT2_lllS3_lllT3_lll.uses_vcc, 0
	.set _ZL26rocblas_dgmm_gfx942_kernelILi32ELi32ELb0EPKdPdEviiT2_lllS3_lllT3_lll.uses_flat_scratch, 0
	.set _ZL26rocblas_dgmm_gfx942_kernelILi32ELi32ELb0EPKdPdEviiT2_lllS3_lllT3_lll.has_dyn_sized_stack, 0
	.set _ZL26rocblas_dgmm_gfx942_kernelILi32ELi32ELb0EPKdPdEviiT2_lllS3_lllT3_lll.has_recursion, 0
	.set _ZL26rocblas_dgmm_gfx942_kernelILi32ELi32ELb0EPKdPdEviiT2_lllS3_lllT3_lll.has_indirect_call, 0
	.section	.AMDGPU.csdata,"",@progbits
; Kernel info:
; codeLenInByte = 4
; TotalNumSgprs: 0
; NumVgprs: 0
; ScratchSize: 0
; MemoryBound: 0
; FloatMode: 240
; IeeeMode: 1
; LDSByteSize: 0 bytes/workgroup (compile time only)
; SGPRBlocks: 0
; VGPRBlocks: 0
; NumSGPRsForWavesPerEU: 1
; NumVGPRsForWavesPerEU: 1
; NamedBarCnt: 0
; Occupancy: 16
; WaveLimiterHint : 0
; COMPUTE_PGM_RSRC2:SCRATCH_EN: 0
; COMPUTE_PGM_RSRC2:USER_SGPR: 2
; COMPUTE_PGM_RSRC2:TRAP_HANDLER: 0
; COMPUTE_PGM_RSRC2:TGID_X_EN: 1
; COMPUTE_PGM_RSRC2:TGID_Y_EN: 0
; COMPUTE_PGM_RSRC2:TGID_Z_EN: 0
; COMPUTE_PGM_RSRC2:TIDIG_COMP_CNT: 0
	.section	.text._ZL19rocblas_dgmm_kernelILi16ELi16ELb0EPKdPdEviiT2_lllS3_lllT3_llli,"axG",@progbits,_ZL19rocblas_dgmm_kernelILi16ELi16ELb0EPKdPdEviiT2_lllS3_lllT3_llli,comdat
	.globl	_ZL19rocblas_dgmm_kernelILi16ELi16ELb0EPKdPdEviiT2_lllS3_lllT3_llli ; -- Begin function _ZL19rocblas_dgmm_kernelILi16ELi16ELb0EPKdPdEviiT2_lllS3_lllT3_llli
	.p2align	8
	.type	_ZL19rocblas_dgmm_kernelILi16ELi16ELb0EPKdPdEviiT2_lllS3_lllT3_llli,@function
_ZL19rocblas_dgmm_kernelILi16ELi16ELb0EPKdPdEviiT2_lllS3_lllT3_llli: ; @_ZL19rocblas_dgmm_kernelILi16ELi16ELb0EPKdPdEviiT2_lllS3_lllT3_llli
; %bb.0:
	s_load_b32 s30, s[0:1], 0x68
	s_bfe_u32 s2, ttmp6, 0x40014
	s_lshr_b32 s3, ttmp7, 16
	s_add_co_i32 s2, s2, 1
	s_bfe_u32 s5, ttmp6, 0x40008
	s_mul_i32 s4, s3, s2
	s_getreg_b32 s2, hwreg(HW_REG_IB_STS2, 6, 4)
	s_add_co_i32 s5, s5, s4
	s_cmp_eq_u32 s2, 0
	s_mov_b32 s29, 0
	s_cselect_b32 s28, s3, s5
	s_wait_kmcnt 0x0
	s_cmp_ge_u32 s28, s30
	s_cbranch_scc1 .LBB5_6
; %bb.1:
	s_bfe_u32 s3, ttmp6, 0x40010
	s_bfe_u32 s20, ttmp6, 0x4000c
	s_load_b512 s[4:19], s[0:1], 0x8
	s_and_b32 s31, ttmp7, 0xffff
	s_add_co_i32 s3, s3, 1
	s_add_co_i32 s20, s20, 1
	s_mul_i32 s3, s31, s3
	s_bfe_u32 s21, ttmp6, 0x40004
	s_and_b32 s22, ttmp6, 15
	s_mul_i32 s20, ttmp9, s20
	s_add_co_i32 s33, s21, s3
	s_add_co_i32 s22, s22, s20
	v_and_b32_e32 v1, 0x3ff, v0
	s_cmp_eq_u32 s2, 0
	v_bfe_u32 v0, v0, 10, 10
	s_cselect_b32 s2, ttmp9, s22
	s_load_b256 s[20:27], s[0:1], 0x48
	v_lshl_add_u32 v2, s2, 4, v1
	s_load_b64 s[2:3], s[0:1], 0x0
	s_wait_xcnt 0x0
	s_add_nc_u64 s[0:1], s[0:1], 0x70
	s_delay_alu instid0(VALU_DEP_1) | instskip(SKIP_1) | instid1(VALU_DEP_1)
	v_ashrrev_i32_e32 v3, 31, v2
	s_wait_kmcnt 0x0
	v_mul_u64_e32 v[4:5], s[16:17], v[2:3]
	s_cselect_b32 s16, s31, s33
	s_lshl_b64 s[6:7], s[6:7], 3
	v_lshl_add_u32 v14, s16, 4, v0
	s_add_nc_u64 s[4:5], s[4:5], s[6:7]
	s_lshl_b64 s[6:7], s[14:15], 3
	s_delay_alu instid0(SALU_CYCLE_1)
	s_add_nc_u64 s[6:7], s[12:13], s[6:7]
	s_lshl_b64 s[14:15], s[22:23], 3
	v_cmp_gt_i32_e32 vcc_lo, s2, v2
	v_lshlrev_b64_e32 v[2:3], 3, v[2:3]
	s_add_nc_u64 s[12:13], s[20:21], s[14:15]
	v_cmp_gt_i32_e64 s2, s3, v14
	s_delay_alu instid0(VALU_DEP_2)
	v_add_nc_u64_e32 v[0:1], s[4:5], v[2:3]
	v_add_nc_u64_e32 v[2:3], s[12:13], v[2:3]
	s_and_b32 s2, vcc_lo, s2
	v_lshl_add_u64 v[4:5], v[4:5], 3, s[6:7]
	s_branch .LBB5_3
.LBB5_2:                                ;   in Loop: Header=BB5_3 Depth=1
	s_or_b32 exec_lo, exec_lo, s4
	s_add_co_i32 s28, s28, 0x10000
	s_delay_alu instid0(SALU_CYCLE_1)
	s_cmp_ge_u32 s28, s30
	s_cbranch_scc1 .LBB5_6
.LBB5_3:                                ; =>This Loop Header: Depth=1
                                        ;     Child Loop BB5_5 Depth 2
	s_and_saveexec_b32 s4, s2
	s_cbranch_execz .LBB5_2
; %bb.4:                                ;   in Loop: Header=BB5_3 Depth=1
	s_load_b32 s5, s[0:1], 0x4
	s_mul_u64 s[6:7], s[10:11], s[28:29]
	s_mul_u64 s[12:13], s[18:19], s[28:29]
	;; [unrolled: 1-line block ×3, first 2 shown]
	v_mov_b32_e32 v6, v14
	v_lshl_add_u64 v[8:9], s[6:7], 3, v[0:1]
	v_lshl_add_u64 v[10:11], s[12:13], 3, v[4:5]
	v_lshl_add_u64 v[12:13], s[14:15], 3, v[2:3]
	s_mov_b32 s6, 0
	s_wait_kmcnt 0x0
	s_lshl_b32 s5, s5, 4
.LBB5_5:                                ;   Parent Loop BB5_3 Depth=1
                                        ; =>  This Inner Loop Header: Depth=2
	v_ashrrev_i32_e32 v7, 31, v6
	s_delay_alu instid0(VALU_DEP_1) | instskip(NEXT) | instid1(VALU_DEP_1)
	v_mul_u64_e32 v[16:17], s[8:9], v[6:7]
	v_lshl_add_u64 v[16:17], v[16:17], 3, v[8:9]
	global_load_b64 v[18:19], v[16:17], off
	global_load_b64 v[20:21], v[10:11], off
	s_wait_loadcnt 0x0
	v_mul_f64_e32 v[18:19], v[18:19], v[20:21]
	s_wait_xcnt 0x1
	v_mul_u64_e32 v[16:17], s[24:25], v[6:7]
	v_add_nc_u32_e32 v6, s5, v6
	s_delay_alu instid0(VALU_DEP_1) | instskip(SKIP_1) | instid1(VALU_DEP_3)
	v_cmp_le_i32_e32 vcc_lo, s3, v6
	s_or_b32 s6, vcc_lo, s6
	v_lshl_add_u64 v[16:17], v[16:17], 3, v[12:13]
	global_store_b64 v[16:17], v[18:19], off
	s_wait_xcnt 0x0
	s_and_not1_b32 exec_lo, exec_lo, s6
	s_cbranch_execnz .LBB5_5
	s_branch .LBB5_2
.LBB5_6:
	s_endpgm
	.section	.rodata,"a",@progbits
	.p2align	6, 0x0
	.amdhsa_kernel _ZL19rocblas_dgmm_kernelILi16ELi16ELb0EPKdPdEviiT2_lllS3_lllT3_llli
		.amdhsa_group_segment_fixed_size 0
		.amdhsa_private_segment_fixed_size 0
		.amdhsa_kernarg_size 368
		.amdhsa_user_sgpr_count 2
		.amdhsa_user_sgpr_dispatch_ptr 0
		.amdhsa_user_sgpr_queue_ptr 0
		.amdhsa_user_sgpr_kernarg_segment_ptr 1
		.amdhsa_user_sgpr_dispatch_id 0
		.amdhsa_user_sgpr_kernarg_preload_length 0
		.amdhsa_user_sgpr_kernarg_preload_offset 0
		.amdhsa_user_sgpr_private_segment_size 0
		.amdhsa_wavefront_size32 1
		.amdhsa_uses_dynamic_stack 0
		.amdhsa_enable_private_segment 0
		.amdhsa_system_sgpr_workgroup_id_x 1
		.amdhsa_system_sgpr_workgroup_id_y 1
		.amdhsa_system_sgpr_workgroup_id_z 1
		.amdhsa_system_sgpr_workgroup_info 0
		.amdhsa_system_vgpr_workitem_id 1
		.amdhsa_next_free_vgpr 22
		.amdhsa_next_free_sgpr 34
		.amdhsa_named_barrier_count 0
		.amdhsa_reserve_vcc 1
		.amdhsa_float_round_mode_32 0
		.amdhsa_float_round_mode_16_64 0
		.amdhsa_float_denorm_mode_32 3
		.amdhsa_float_denorm_mode_16_64 3
		.amdhsa_fp16_overflow 0
		.amdhsa_memory_ordered 1
		.amdhsa_forward_progress 1
		.amdhsa_inst_pref_size 4
		.amdhsa_round_robin_scheduling 0
		.amdhsa_exception_fp_ieee_invalid_op 0
		.amdhsa_exception_fp_denorm_src 0
		.amdhsa_exception_fp_ieee_div_zero 0
		.amdhsa_exception_fp_ieee_overflow 0
		.amdhsa_exception_fp_ieee_underflow 0
		.amdhsa_exception_fp_ieee_inexact 0
		.amdhsa_exception_int_div_zero 0
	.end_amdhsa_kernel
	.section	.text._ZL19rocblas_dgmm_kernelILi16ELi16ELb0EPKdPdEviiT2_lllS3_lllT3_llli,"axG",@progbits,_ZL19rocblas_dgmm_kernelILi16ELi16ELb0EPKdPdEviiT2_lllS3_lllT3_llli,comdat
.Lfunc_end5:
	.size	_ZL19rocblas_dgmm_kernelILi16ELi16ELb0EPKdPdEviiT2_lllS3_lllT3_llli, .Lfunc_end5-_ZL19rocblas_dgmm_kernelILi16ELi16ELb0EPKdPdEviiT2_lllS3_lllT3_llli
                                        ; -- End function
	.set _ZL19rocblas_dgmm_kernelILi16ELi16ELb0EPKdPdEviiT2_lllS3_lllT3_llli.num_vgpr, 22
	.set _ZL19rocblas_dgmm_kernelILi16ELi16ELb0EPKdPdEviiT2_lllS3_lllT3_llli.num_agpr, 0
	.set _ZL19rocblas_dgmm_kernelILi16ELi16ELb0EPKdPdEviiT2_lllS3_lllT3_llli.numbered_sgpr, 34
	.set _ZL19rocblas_dgmm_kernelILi16ELi16ELb0EPKdPdEviiT2_lllS3_lllT3_llli.num_named_barrier, 0
	.set _ZL19rocblas_dgmm_kernelILi16ELi16ELb0EPKdPdEviiT2_lllS3_lllT3_llli.private_seg_size, 0
	.set _ZL19rocblas_dgmm_kernelILi16ELi16ELb0EPKdPdEviiT2_lllS3_lllT3_llli.uses_vcc, 1
	.set _ZL19rocblas_dgmm_kernelILi16ELi16ELb0EPKdPdEviiT2_lllS3_lllT3_llli.uses_flat_scratch, 0
	.set _ZL19rocblas_dgmm_kernelILi16ELi16ELb0EPKdPdEviiT2_lllS3_lllT3_llli.has_dyn_sized_stack, 0
	.set _ZL19rocblas_dgmm_kernelILi16ELi16ELb0EPKdPdEviiT2_lllS3_lllT3_llli.has_recursion, 0
	.set _ZL19rocblas_dgmm_kernelILi16ELi16ELb0EPKdPdEviiT2_lllS3_lllT3_llli.has_indirect_call, 0
	.section	.AMDGPU.csdata,"",@progbits
; Kernel info:
; codeLenInByte = 504
; TotalNumSgprs: 36
; NumVgprs: 22
; ScratchSize: 0
; MemoryBound: 0
; FloatMode: 240
; IeeeMode: 1
; LDSByteSize: 0 bytes/workgroup (compile time only)
; SGPRBlocks: 0
; VGPRBlocks: 1
; NumSGPRsForWavesPerEU: 36
; NumVGPRsForWavesPerEU: 22
; NamedBarCnt: 0
; Occupancy: 16
; WaveLimiterHint : 0
; COMPUTE_PGM_RSRC2:SCRATCH_EN: 0
; COMPUTE_PGM_RSRC2:USER_SGPR: 2
; COMPUTE_PGM_RSRC2:TRAP_HANDLER: 0
; COMPUTE_PGM_RSRC2:TGID_X_EN: 1
; COMPUTE_PGM_RSRC2:TGID_Y_EN: 1
; COMPUTE_PGM_RSRC2:TGID_Z_EN: 1
; COMPUTE_PGM_RSRC2:TIDIG_COMP_CNT: 1
	.section	.text._ZL26rocblas_dgmm_gfx942_kernelILi32ELi32ELb1EPKdPdEviiT2_lllS3_lllT3_lll,"axG",@progbits,_ZL26rocblas_dgmm_gfx942_kernelILi32ELi32ELb1EPKdPdEviiT2_lllS3_lllT3_lll,comdat
	.globl	_ZL26rocblas_dgmm_gfx942_kernelILi32ELi32ELb1EPKdPdEviiT2_lllS3_lllT3_lll ; -- Begin function _ZL26rocblas_dgmm_gfx942_kernelILi32ELi32ELb1EPKdPdEviiT2_lllS3_lllT3_lll
	.p2align	8
	.type	_ZL26rocblas_dgmm_gfx942_kernelILi32ELi32ELb1EPKdPdEviiT2_lllS3_lllT3_lll,@function
_ZL26rocblas_dgmm_gfx942_kernelILi32ELi32ELb1EPKdPdEviiT2_lllS3_lllT3_lll: ; @_ZL26rocblas_dgmm_gfx942_kernelILi32ELi32ELb1EPKdPdEviiT2_lllS3_lllT3_lll
; %bb.0:
	s_endpgm
	.section	.rodata,"a",@progbits
	.p2align	6, 0x0
	.amdhsa_kernel _ZL26rocblas_dgmm_gfx942_kernelILi32ELi32ELb1EPKdPdEviiT2_lllS3_lllT3_lll
		.amdhsa_group_segment_fixed_size 0
		.amdhsa_private_segment_fixed_size 0
		.amdhsa_kernarg_size 104
		.amdhsa_user_sgpr_count 2
		.amdhsa_user_sgpr_dispatch_ptr 0
		.amdhsa_user_sgpr_queue_ptr 0
		.amdhsa_user_sgpr_kernarg_segment_ptr 1
		.amdhsa_user_sgpr_dispatch_id 0
		.amdhsa_user_sgpr_kernarg_preload_length 0
		.amdhsa_user_sgpr_kernarg_preload_offset 0
		.amdhsa_user_sgpr_private_segment_size 0
		.amdhsa_wavefront_size32 1
		.amdhsa_uses_dynamic_stack 0
		.amdhsa_enable_private_segment 0
		.amdhsa_system_sgpr_workgroup_id_x 1
		.amdhsa_system_sgpr_workgroup_id_y 0
		.amdhsa_system_sgpr_workgroup_id_z 0
		.amdhsa_system_sgpr_workgroup_info 0
		.amdhsa_system_vgpr_workitem_id 0
		.amdhsa_next_free_vgpr 1
		.amdhsa_next_free_sgpr 1
		.amdhsa_named_barrier_count 0
		.amdhsa_reserve_vcc 0
		.amdhsa_float_round_mode_32 0
		.amdhsa_float_round_mode_16_64 0
		.amdhsa_float_denorm_mode_32 3
		.amdhsa_float_denorm_mode_16_64 3
		.amdhsa_fp16_overflow 0
		.amdhsa_memory_ordered 1
		.amdhsa_forward_progress 1
		.amdhsa_inst_pref_size 1
		.amdhsa_round_robin_scheduling 0
		.amdhsa_exception_fp_ieee_invalid_op 0
		.amdhsa_exception_fp_denorm_src 0
		.amdhsa_exception_fp_ieee_div_zero 0
		.amdhsa_exception_fp_ieee_overflow 0
		.amdhsa_exception_fp_ieee_underflow 0
		.amdhsa_exception_fp_ieee_inexact 0
		.amdhsa_exception_int_div_zero 0
	.end_amdhsa_kernel
	.section	.text._ZL26rocblas_dgmm_gfx942_kernelILi32ELi32ELb1EPKdPdEviiT2_lllS3_lllT3_lll,"axG",@progbits,_ZL26rocblas_dgmm_gfx942_kernelILi32ELi32ELb1EPKdPdEviiT2_lllS3_lllT3_lll,comdat
.Lfunc_end6:
	.size	_ZL26rocblas_dgmm_gfx942_kernelILi32ELi32ELb1EPKdPdEviiT2_lllS3_lllT3_lll, .Lfunc_end6-_ZL26rocblas_dgmm_gfx942_kernelILi32ELi32ELb1EPKdPdEviiT2_lllS3_lllT3_lll
                                        ; -- End function
	.set _ZL26rocblas_dgmm_gfx942_kernelILi32ELi32ELb1EPKdPdEviiT2_lllS3_lllT3_lll.num_vgpr, 0
	.set _ZL26rocblas_dgmm_gfx942_kernelILi32ELi32ELb1EPKdPdEviiT2_lllS3_lllT3_lll.num_agpr, 0
	.set _ZL26rocblas_dgmm_gfx942_kernelILi32ELi32ELb1EPKdPdEviiT2_lllS3_lllT3_lll.numbered_sgpr, 0
	.set _ZL26rocblas_dgmm_gfx942_kernelILi32ELi32ELb1EPKdPdEviiT2_lllS3_lllT3_lll.num_named_barrier, 0
	.set _ZL26rocblas_dgmm_gfx942_kernelILi32ELi32ELb1EPKdPdEviiT2_lllS3_lllT3_lll.private_seg_size, 0
	.set _ZL26rocblas_dgmm_gfx942_kernelILi32ELi32ELb1EPKdPdEviiT2_lllS3_lllT3_lll.uses_vcc, 0
	.set _ZL26rocblas_dgmm_gfx942_kernelILi32ELi32ELb1EPKdPdEviiT2_lllS3_lllT3_lll.uses_flat_scratch, 0
	.set _ZL26rocblas_dgmm_gfx942_kernelILi32ELi32ELb1EPKdPdEviiT2_lllS3_lllT3_lll.has_dyn_sized_stack, 0
	.set _ZL26rocblas_dgmm_gfx942_kernelILi32ELi32ELb1EPKdPdEviiT2_lllS3_lllT3_lll.has_recursion, 0
	.set _ZL26rocblas_dgmm_gfx942_kernelILi32ELi32ELb1EPKdPdEviiT2_lllS3_lllT3_lll.has_indirect_call, 0
	.section	.AMDGPU.csdata,"",@progbits
; Kernel info:
; codeLenInByte = 4
; TotalNumSgprs: 0
; NumVgprs: 0
; ScratchSize: 0
; MemoryBound: 0
; FloatMode: 240
; IeeeMode: 1
; LDSByteSize: 0 bytes/workgroup (compile time only)
; SGPRBlocks: 0
; VGPRBlocks: 0
; NumSGPRsForWavesPerEU: 1
; NumVGPRsForWavesPerEU: 1
; NamedBarCnt: 0
; Occupancy: 16
; WaveLimiterHint : 0
; COMPUTE_PGM_RSRC2:SCRATCH_EN: 0
; COMPUTE_PGM_RSRC2:USER_SGPR: 2
; COMPUTE_PGM_RSRC2:TRAP_HANDLER: 0
; COMPUTE_PGM_RSRC2:TGID_X_EN: 1
; COMPUTE_PGM_RSRC2:TGID_Y_EN: 0
; COMPUTE_PGM_RSRC2:TGID_Z_EN: 0
; COMPUTE_PGM_RSRC2:TIDIG_COMP_CNT: 0
	.section	.text._ZL19rocblas_dgmm_kernelILi16ELi16ELb1EPKdPdEviiT2_lllS3_lllT3_llli,"axG",@progbits,_ZL19rocblas_dgmm_kernelILi16ELi16ELb1EPKdPdEviiT2_lllS3_lllT3_llli,comdat
	.globl	_ZL19rocblas_dgmm_kernelILi16ELi16ELb1EPKdPdEviiT2_lllS3_lllT3_llli ; -- Begin function _ZL19rocblas_dgmm_kernelILi16ELi16ELb1EPKdPdEviiT2_lllS3_lllT3_llli
	.p2align	8
	.type	_ZL19rocblas_dgmm_kernelILi16ELi16ELb1EPKdPdEviiT2_lllS3_lllT3_llli,@function
_ZL19rocblas_dgmm_kernelILi16ELi16ELb1EPKdPdEviiT2_lllS3_lllT3_llli: ; @_ZL19rocblas_dgmm_kernelILi16ELi16ELb1EPKdPdEviiT2_lllS3_lllT3_llli
; %bb.0:
	s_load_b32 s30, s[0:1], 0x68
	s_bfe_u32 s2, ttmp6, 0x40014
	s_lshr_b32 s3, ttmp7, 16
	s_add_co_i32 s2, s2, 1
	s_bfe_u32 s4, ttmp6, 0x40008
	s_mul_i32 s2, s3, s2
	s_getreg_b32 s31, hwreg(HW_REG_IB_STS2, 6, 4)
	s_add_co_i32 s4, s4, s2
	s_cmp_eq_u32 s31, 0
	s_mov_b32 s29, 0
	s_cselect_b32 s28, s3, s4
	s_wait_kmcnt 0x0
	s_cmp_ge_u32 s28, s30
	s_cbranch_scc1 .LBB7_6
; %bb.1:
	s_bfe_u32 s20, ttmp6, 0x40010
	s_bfe_u32 s35, ttmp6, 0x4000c
	s_and_b32 s33, ttmp7, 0xffff
	s_add_co_i32 s34, s20, 1
	s_add_co_i32 s35, s35, 1
	s_clause 0x2
	s_load_b64 s[2:3], s[0:1], 0x0
	s_load_b512 s[4:19], s[0:1], 0x8
	s_load_b256 s[20:27], s[0:1], 0x48
	s_mul_i32 s34, s33, s34
	s_bfe_u32 s36, ttmp6, 0x40004
	s_and_b32 s37, ttmp6, 15
	s_mul_i32 s35, ttmp9, s35
	s_add_co_i32 s36, s36, s34
	s_add_co_i32 s37, s37, s35
	v_and_b32_e32 v1, 0x3ff, v0
	s_cmp_eq_u32 s31, 0
	v_bfe_u32 v0, v0, 10, 10
	s_cselect_b32 s31, ttmp9, s37
	s_wait_xcnt 0x0
	s_add_nc_u64 s[0:1], s[0:1], 0x70
	v_lshl_add_u32 v2, s31, 4, v1
	s_cselect_b32 s31, s33, s36
	s_delay_alu instid0(SALU_CYCLE_1) | instskip(NEXT) | instid1(VALU_DEP_2)
	v_lshl_add_u32 v10, s31, 4, v0
	v_ashrrev_i32_e32 v3, 31, v2
	s_wait_kmcnt 0x0
	v_cmp_gt_i32_e32 vcc_lo, s2, v2
	s_lshl_b64 s[6:7], s[6:7], 3
	s_lshl_b64 s[22:23], s[22:23], 3
	s_add_nc_u64 s[4:5], s[4:5], s[6:7]
	v_lshlrev_b64_e32 v[4:5], 3, v[2:3]
	s_add_nc_u64 s[6:7], s[20:21], s[22:23]
	v_cmp_gt_i32_e64 s2, s3, v10
	s_delay_alu instid0(VALU_DEP_2)
	v_add_nc_u64_e32 v[0:1], s[4:5], v[4:5]
	v_add_nc_u64_e32 v[2:3], s[6:7], v[4:5]
	s_lshl_b64 s[4:5], s[14:15], 3
	s_and_b32 s2, vcc_lo, s2
	s_add_nc_u64 s[4:5], s[12:13], s[4:5]
	s_branch .LBB7_3
.LBB7_2:                                ;   in Loop: Header=BB7_3 Depth=1
	s_or_b32 exec_lo, exec_lo, s12
	s_add_co_i32 s28, s28, 0x10000
	s_delay_alu instid0(SALU_CYCLE_1)
	s_cmp_ge_u32 s28, s30
	s_cbranch_scc1 .LBB7_6
.LBB7_3:                                ; =>This Loop Header: Depth=1
                                        ;     Child Loop BB7_5 Depth 2
	s_and_saveexec_b32 s12, s2
	s_cbranch_execz .LBB7_2
; %bb.4:                                ;   in Loop: Header=BB7_3 Depth=1
	s_load_b32 s13, s[0:1], 0x4
	s_mul_u64 s[6:7], s[10:11], s[28:29]
	s_mul_u64 s[20:21], s[26:27], s[28:29]
	;; [unrolled: 1-line block ×3, first 2 shown]
	v_mov_b32_e32 v4, v10
	v_lshl_add_u64 v[6:7], s[6:7], 3, v[0:1]
	v_lshl_add_u64 v[8:9], s[20:21], 3, v[2:3]
	s_lshl_b64 s[14:15], s[14:15], 3
	s_delay_alu instid0(SALU_CYCLE_1)
	s_add_nc_u64 s[6:7], s[4:5], s[14:15]
	s_mov_b32 s14, 0
	s_wait_kmcnt 0x0
	s_lshl_b32 s13, s13, 4
.LBB7_5:                                ;   Parent Loop BB7_3 Depth=1
                                        ; =>  This Inner Loop Header: Depth=2
	v_ashrrev_i32_e32 v5, 31, v4
	s_delay_alu instid0(VALU_DEP_1) | instskip(SKIP_1) | instid1(VALU_DEP_2)
	v_mul_u64_e32 v[12:13], s[8:9], v[4:5]
	v_mul_u64_e32 v[14:15], s[16:17], v[4:5]
	v_lshl_add_u64 v[12:13], v[12:13], 3, v[6:7]
	s_delay_alu instid0(VALU_DEP_2)
	v_lshl_add_u64 v[14:15], v[14:15], 3, s[6:7]
	global_load_b64 v[16:17], v[12:13], off
	global_load_b64 v[18:19], v[14:15], off
	s_wait_loadcnt 0x0
	s_wait_xcnt 0x0
	v_mul_f64_e32 v[14:15], v[16:17], v[18:19]
	v_mul_u64_e32 v[12:13], s[24:25], v[4:5]
	v_add_nc_u32_e32 v4, s13, v4
	s_delay_alu instid0(VALU_DEP_1) | instskip(SKIP_1) | instid1(VALU_DEP_3)
	v_cmp_le_i32_e32 vcc_lo, s3, v4
	s_or_b32 s14, vcc_lo, s14
	v_lshl_add_u64 v[12:13], v[12:13], 3, v[8:9]
	global_store_b64 v[12:13], v[14:15], off
	s_wait_xcnt 0x0
	s_and_not1_b32 exec_lo, exec_lo, s14
	s_cbranch_execnz .LBB7_5
	s_branch .LBB7_2
.LBB7_6:
	s_endpgm
	.section	.rodata,"a",@progbits
	.p2align	6, 0x0
	.amdhsa_kernel _ZL19rocblas_dgmm_kernelILi16ELi16ELb1EPKdPdEviiT2_lllS3_lllT3_llli
		.amdhsa_group_segment_fixed_size 0
		.amdhsa_private_segment_fixed_size 0
		.amdhsa_kernarg_size 368
		.amdhsa_user_sgpr_count 2
		.amdhsa_user_sgpr_dispatch_ptr 0
		.amdhsa_user_sgpr_queue_ptr 0
		.amdhsa_user_sgpr_kernarg_segment_ptr 1
		.amdhsa_user_sgpr_dispatch_id 0
		.amdhsa_user_sgpr_kernarg_preload_length 0
		.amdhsa_user_sgpr_kernarg_preload_offset 0
		.amdhsa_user_sgpr_private_segment_size 0
		.amdhsa_wavefront_size32 1
		.amdhsa_uses_dynamic_stack 0
		.amdhsa_enable_private_segment 0
		.amdhsa_system_sgpr_workgroup_id_x 1
		.amdhsa_system_sgpr_workgroup_id_y 1
		.amdhsa_system_sgpr_workgroup_id_z 1
		.amdhsa_system_sgpr_workgroup_info 0
		.amdhsa_system_vgpr_workitem_id 1
		.amdhsa_next_free_vgpr 20
		.amdhsa_next_free_sgpr 38
		.amdhsa_named_barrier_count 0
		.amdhsa_reserve_vcc 1
		.amdhsa_float_round_mode_32 0
		.amdhsa_float_round_mode_16_64 0
		.amdhsa_float_denorm_mode_32 3
		.amdhsa_float_denorm_mode_16_64 3
		.amdhsa_fp16_overflow 0
		.amdhsa_memory_ordered 1
		.amdhsa_forward_progress 1
		.amdhsa_inst_pref_size 4
		.amdhsa_round_robin_scheduling 0
		.amdhsa_exception_fp_ieee_invalid_op 0
		.amdhsa_exception_fp_denorm_src 0
		.amdhsa_exception_fp_ieee_div_zero 0
		.amdhsa_exception_fp_ieee_overflow 0
		.amdhsa_exception_fp_ieee_underflow 0
		.amdhsa_exception_fp_ieee_inexact 0
		.amdhsa_exception_int_div_zero 0
	.end_amdhsa_kernel
	.section	.text._ZL19rocblas_dgmm_kernelILi16ELi16ELb1EPKdPdEviiT2_lllS3_lllT3_llli,"axG",@progbits,_ZL19rocblas_dgmm_kernelILi16ELi16ELb1EPKdPdEviiT2_lllS3_lllT3_llli,comdat
.Lfunc_end7:
	.size	_ZL19rocblas_dgmm_kernelILi16ELi16ELb1EPKdPdEviiT2_lllS3_lllT3_llli, .Lfunc_end7-_ZL19rocblas_dgmm_kernelILi16ELi16ELb1EPKdPdEviiT2_lllS3_lllT3_llli
                                        ; -- End function
	.set _ZL19rocblas_dgmm_kernelILi16ELi16ELb1EPKdPdEviiT2_lllS3_lllT3_llli.num_vgpr, 20
	.set _ZL19rocblas_dgmm_kernelILi16ELi16ELb1EPKdPdEviiT2_lllS3_lllT3_llli.num_agpr, 0
	.set _ZL19rocblas_dgmm_kernelILi16ELi16ELb1EPKdPdEviiT2_lllS3_lllT3_llli.numbered_sgpr, 38
	.set _ZL19rocblas_dgmm_kernelILi16ELi16ELb1EPKdPdEviiT2_lllS3_lllT3_llli.num_named_barrier, 0
	.set _ZL19rocblas_dgmm_kernelILi16ELi16ELb1EPKdPdEviiT2_lllS3_lllT3_llli.private_seg_size, 0
	.set _ZL19rocblas_dgmm_kernelILi16ELi16ELb1EPKdPdEviiT2_lllS3_lllT3_llli.uses_vcc, 1
	.set _ZL19rocblas_dgmm_kernelILi16ELi16ELb1EPKdPdEviiT2_lllS3_lllT3_llli.uses_flat_scratch, 0
	.set _ZL19rocblas_dgmm_kernelILi16ELi16ELb1EPKdPdEviiT2_lllS3_lllT3_llli.has_dyn_sized_stack, 0
	.set _ZL19rocblas_dgmm_kernelILi16ELi16ELb1EPKdPdEviiT2_lllS3_lllT3_llli.has_recursion, 0
	.set _ZL19rocblas_dgmm_kernelILi16ELi16ELb1EPKdPdEviiT2_lllS3_lllT3_llli.has_indirect_call, 0
	.section	.AMDGPU.csdata,"",@progbits
; Kernel info:
; codeLenInByte = 512
; TotalNumSgprs: 40
; NumVgprs: 20
; ScratchSize: 0
; MemoryBound: 0
; FloatMode: 240
; IeeeMode: 1
; LDSByteSize: 0 bytes/workgroup (compile time only)
; SGPRBlocks: 0
; VGPRBlocks: 1
; NumSGPRsForWavesPerEU: 40
; NumVGPRsForWavesPerEU: 20
; NamedBarCnt: 0
; Occupancy: 16
; WaveLimiterHint : 0
; COMPUTE_PGM_RSRC2:SCRATCH_EN: 0
; COMPUTE_PGM_RSRC2:USER_SGPR: 2
; COMPUTE_PGM_RSRC2:TRAP_HANDLER: 0
; COMPUTE_PGM_RSRC2:TGID_X_EN: 1
; COMPUTE_PGM_RSRC2:TGID_Y_EN: 1
; COMPUTE_PGM_RSRC2:TGID_Z_EN: 1
; COMPUTE_PGM_RSRC2:TIDIG_COMP_CNT: 1
	.section	.text._ZL26rocblas_dgmm_gfx942_kernelILi32ELi32ELb0EPK19rocblas_complex_numIfEPS1_EviiT2_lllS5_lllT3_lll,"axG",@progbits,_ZL26rocblas_dgmm_gfx942_kernelILi32ELi32ELb0EPK19rocblas_complex_numIfEPS1_EviiT2_lllS5_lllT3_lll,comdat
	.globl	_ZL26rocblas_dgmm_gfx942_kernelILi32ELi32ELb0EPK19rocblas_complex_numIfEPS1_EviiT2_lllS5_lllT3_lll ; -- Begin function _ZL26rocblas_dgmm_gfx942_kernelILi32ELi32ELb0EPK19rocblas_complex_numIfEPS1_EviiT2_lllS5_lllT3_lll
	.p2align	8
	.type	_ZL26rocblas_dgmm_gfx942_kernelILi32ELi32ELb0EPK19rocblas_complex_numIfEPS1_EviiT2_lllS5_lllT3_lll,@function
_ZL26rocblas_dgmm_gfx942_kernelILi32ELi32ELb0EPK19rocblas_complex_numIfEPS1_EviiT2_lllS5_lllT3_lll: ; @_ZL26rocblas_dgmm_gfx942_kernelILi32ELi32ELb0EPK19rocblas_complex_numIfEPS1_EviiT2_lllS5_lllT3_lll
; %bb.0:
	s_endpgm
	.section	.rodata,"a",@progbits
	.p2align	6, 0x0
	.amdhsa_kernel _ZL26rocblas_dgmm_gfx942_kernelILi32ELi32ELb0EPK19rocblas_complex_numIfEPS1_EviiT2_lllS5_lllT3_lll
		.amdhsa_group_segment_fixed_size 0
		.amdhsa_private_segment_fixed_size 0
		.amdhsa_kernarg_size 104
		.amdhsa_user_sgpr_count 2
		.amdhsa_user_sgpr_dispatch_ptr 0
		.amdhsa_user_sgpr_queue_ptr 0
		.amdhsa_user_sgpr_kernarg_segment_ptr 1
		.amdhsa_user_sgpr_dispatch_id 0
		.amdhsa_user_sgpr_kernarg_preload_length 0
		.amdhsa_user_sgpr_kernarg_preload_offset 0
		.amdhsa_user_sgpr_private_segment_size 0
		.amdhsa_wavefront_size32 1
		.amdhsa_uses_dynamic_stack 0
		.amdhsa_enable_private_segment 0
		.amdhsa_system_sgpr_workgroup_id_x 1
		.amdhsa_system_sgpr_workgroup_id_y 0
		.amdhsa_system_sgpr_workgroup_id_z 0
		.amdhsa_system_sgpr_workgroup_info 0
		.amdhsa_system_vgpr_workitem_id 0
		.amdhsa_next_free_vgpr 1
		.amdhsa_next_free_sgpr 1
		.amdhsa_named_barrier_count 0
		.amdhsa_reserve_vcc 0
		.amdhsa_float_round_mode_32 0
		.amdhsa_float_round_mode_16_64 0
		.amdhsa_float_denorm_mode_32 3
		.amdhsa_float_denorm_mode_16_64 3
		.amdhsa_fp16_overflow 0
		.amdhsa_memory_ordered 1
		.amdhsa_forward_progress 1
		.amdhsa_inst_pref_size 1
		.amdhsa_round_robin_scheduling 0
		.amdhsa_exception_fp_ieee_invalid_op 0
		.amdhsa_exception_fp_denorm_src 0
		.amdhsa_exception_fp_ieee_div_zero 0
		.amdhsa_exception_fp_ieee_overflow 0
		.amdhsa_exception_fp_ieee_underflow 0
		.amdhsa_exception_fp_ieee_inexact 0
		.amdhsa_exception_int_div_zero 0
	.end_amdhsa_kernel
	.section	.text._ZL26rocblas_dgmm_gfx942_kernelILi32ELi32ELb0EPK19rocblas_complex_numIfEPS1_EviiT2_lllS5_lllT3_lll,"axG",@progbits,_ZL26rocblas_dgmm_gfx942_kernelILi32ELi32ELb0EPK19rocblas_complex_numIfEPS1_EviiT2_lllS5_lllT3_lll,comdat
.Lfunc_end8:
	.size	_ZL26rocblas_dgmm_gfx942_kernelILi32ELi32ELb0EPK19rocblas_complex_numIfEPS1_EviiT2_lllS5_lllT3_lll, .Lfunc_end8-_ZL26rocblas_dgmm_gfx942_kernelILi32ELi32ELb0EPK19rocblas_complex_numIfEPS1_EviiT2_lllS5_lllT3_lll
                                        ; -- End function
	.set _ZL26rocblas_dgmm_gfx942_kernelILi32ELi32ELb0EPK19rocblas_complex_numIfEPS1_EviiT2_lllS5_lllT3_lll.num_vgpr, 0
	.set _ZL26rocblas_dgmm_gfx942_kernelILi32ELi32ELb0EPK19rocblas_complex_numIfEPS1_EviiT2_lllS5_lllT3_lll.num_agpr, 0
	.set _ZL26rocblas_dgmm_gfx942_kernelILi32ELi32ELb0EPK19rocblas_complex_numIfEPS1_EviiT2_lllS5_lllT3_lll.numbered_sgpr, 0
	.set _ZL26rocblas_dgmm_gfx942_kernelILi32ELi32ELb0EPK19rocblas_complex_numIfEPS1_EviiT2_lllS5_lllT3_lll.num_named_barrier, 0
	.set _ZL26rocblas_dgmm_gfx942_kernelILi32ELi32ELb0EPK19rocblas_complex_numIfEPS1_EviiT2_lllS5_lllT3_lll.private_seg_size, 0
	.set _ZL26rocblas_dgmm_gfx942_kernelILi32ELi32ELb0EPK19rocblas_complex_numIfEPS1_EviiT2_lllS5_lllT3_lll.uses_vcc, 0
	.set _ZL26rocblas_dgmm_gfx942_kernelILi32ELi32ELb0EPK19rocblas_complex_numIfEPS1_EviiT2_lllS5_lllT3_lll.uses_flat_scratch, 0
	.set _ZL26rocblas_dgmm_gfx942_kernelILi32ELi32ELb0EPK19rocblas_complex_numIfEPS1_EviiT2_lllS5_lllT3_lll.has_dyn_sized_stack, 0
	.set _ZL26rocblas_dgmm_gfx942_kernelILi32ELi32ELb0EPK19rocblas_complex_numIfEPS1_EviiT2_lllS5_lllT3_lll.has_recursion, 0
	.set _ZL26rocblas_dgmm_gfx942_kernelILi32ELi32ELb0EPK19rocblas_complex_numIfEPS1_EviiT2_lllS5_lllT3_lll.has_indirect_call, 0
	.section	.AMDGPU.csdata,"",@progbits
; Kernel info:
; codeLenInByte = 4
; TotalNumSgprs: 0
; NumVgprs: 0
; ScratchSize: 0
; MemoryBound: 0
; FloatMode: 240
; IeeeMode: 1
; LDSByteSize: 0 bytes/workgroup (compile time only)
; SGPRBlocks: 0
; VGPRBlocks: 0
; NumSGPRsForWavesPerEU: 1
; NumVGPRsForWavesPerEU: 1
; NamedBarCnt: 0
; Occupancy: 16
; WaveLimiterHint : 0
; COMPUTE_PGM_RSRC2:SCRATCH_EN: 0
; COMPUTE_PGM_RSRC2:USER_SGPR: 2
; COMPUTE_PGM_RSRC2:TRAP_HANDLER: 0
; COMPUTE_PGM_RSRC2:TGID_X_EN: 1
; COMPUTE_PGM_RSRC2:TGID_Y_EN: 0
; COMPUTE_PGM_RSRC2:TGID_Z_EN: 0
; COMPUTE_PGM_RSRC2:TIDIG_COMP_CNT: 0
	.section	.text._ZL19rocblas_dgmm_kernelILi16ELi16ELb0EPK19rocblas_complex_numIfEPS1_EviiT2_lllS5_lllT3_llli,"axG",@progbits,_ZL19rocblas_dgmm_kernelILi16ELi16ELb0EPK19rocblas_complex_numIfEPS1_EviiT2_lllS5_lllT3_llli,comdat
	.globl	_ZL19rocblas_dgmm_kernelILi16ELi16ELb0EPK19rocblas_complex_numIfEPS1_EviiT2_lllS5_lllT3_llli ; -- Begin function _ZL19rocblas_dgmm_kernelILi16ELi16ELb0EPK19rocblas_complex_numIfEPS1_EviiT2_lllS5_lllT3_llli
	.p2align	8
	.type	_ZL19rocblas_dgmm_kernelILi16ELi16ELb0EPK19rocblas_complex_numIfEPS1_EviiT2_lllS5_lllT3_llli,@function
_ZL19rocblas_dgmm_kernelILi16ELi16ELb0EPK19rocblas_complex_numIfEPS1_EviiT2_lllS5_lllT3_llli: ; @_ZL19rocblas_dgmm_kernelILi16ELi16ELb0EPK19rocblas_complex_numIfEPS1_EviiT2_lllS5_lllT3_llli
; %bb.0:
	s_load_b32 s30, s[0:1], 0x68
	s_bfe_u32 s2, ttmp6, 0x40014
	s_lshr_b32 s3, ttmp7, 16
	s_add_co_i32 s2, s2, 1
	s_bfe_u32 s5, ttmp6, 0x40008
	s_mul_i32 s4, s3, s2
	s_getreg_b32 s2, hwreg(HW_REG_IB_STS2, 6, 4)
	s_add_co_i32 s5, s5, s4
	s_cmp_eq_u32 s2, 0
	s_mov_b32 s29, 0
	s_cselect_b32 s28, s3, s5
	s_wait_kmcnt 0x0
	s_cmp_ge_u32 s28, s30
	s_cbranch_scc1 .LBB9_6
; %bb.1:
	s_bfe_u32 s3, ttmp6, 0x40010
	s_bfe_u32 s20, ttmp6, 0x4000c
	s_load_b512 s[4:19], s[0:1], 0x8
	s_and_b32 s31, ttmp7, 0xffff
	s_add_co_i32 s3, s3, 1
	s_add_co_i32 s20, s20, 1
	s_mul_i32 s3, s31, s3
	s_bfe_u32 s21, ttmp6, 0x40004
	s_and_b32 s22, ttmp6, 15
	s_mul_i32 s20, ttmp9, s20
	s_add_co_i32 s33, s21, s3
	s_add_co_i32 s22, s22, s20
	v_and_b32_e32 v1, 0x3ff, v0
	s_cmp_eq_u32 s2, 0
	v_bfe_u32 v0, v0, 10, 10
	s_cselect_b32 s2, ttmp9, s22
	s_load_b256 s[20:27], s[0:1], 0x48
	v_lshl_add_u32 v2, s2, 4, v1
	s_load_b64 s[2:3], s[0:1], 0x0
	s_wait_xcnt 0x0
	s_add_nc_u64 s[0:1], s[0:1], 0x70
	s_delay_alu instid0(VALU_DEP_1) | instskip(SKIP_1) | instid1(VALU_DEP_1)
	v_ashrrev_i32_e32 v3, 31, v2
	s_wait_kmcnt 0x0
	v_mul_u64_e32 v[4:5], s[16:17], v[2:3]
	s_cselect_b32 s16, s31, s33
	s_lshl_b64 s[6:7], s[6:7], 3
	v_lshl_add_u32 v14, s16, 4, v0
	s_add_nc_u64 s[4:5], s[4:5], s[6:7]
	s_lshl_b64 s[6:7], s[14:15], 3
	s_delay_alu instid0(SALU_CYCLE_1)
	s_add_nc_u64 s[6:7], s[12:13], s[6:7]
	s_lshl_b64 s[14:15], s[22:23], 3
	v_cmp_gt_i32_e32 vcc_lo, s2, v2
	v_lshlrev_b64_e32 v[2:3], 3, v[2:3]
	s_add_nc_u64 s[12:13], s[20:21], s[14:15]
	v_cmp_gt_i32_e64 s2, s3, v14
	s_delay_alu instid0(VALU_DEP_2)
	v_add_nc_u64_e32 v[0:1], s[4:5], v[2:3]
	v_add_nc_u64_e32 v[2:3], s[12:13], v[2:3]
	s_and_b32 s2, vcc_lo, s2
	v_lshl_add_u64 v[4:5], v[4:5], 3, s[6:7]
	s_branch .LBB9_3
.LBB9_2:                                ;   in Loop: Header=BB9_3 Depth=1
	s_or_b32 exec_lo, exec_lo, s4
	s_add_co_i32 s28, s28, 0x10000
	s_delay_alu instid0(SALU_CYCLE_1)
	s_cmp_ge_u32 s28, s30
	s_cbranch_scc1 .LBB9_6
.LBB9_3:                                ; =>This Loop Header: Depth=1
                                        ;     Child Loop BB9_5 Depth 2
	s_and_saveexec_b32 s4, s2
	s_cbranch_execz .LBB9_2
; %bb.4:                                ;   in Loop: Header=BB9_3 Depth=1
	s_load_b32 s5, s[0:1], 0x4
	s_mul_u64 s[6:7], s[10:11], s[28:29]
	s_mul_u64 s[12:13], s[18:19], s[28:29]
	;; [unrolled: 1-line block ×3, first 2 shown]
	v_mov_b32_e32 v6, v14
	v_lshl_add_u64 v[8:9], s[6:7], 3, v[0:1]
	v_lshl_add_u64 v[10:11], s[12:13], 3, v[4:5]
	;; [unrolled: 1-line block ×3, first 2 shown]
	s_mov_b32 s6, 0
	s_wait_kmcnt 0x0
	s_lshl_b32 s5, s5, 4
.LBB9_5:                                ;   Parent Loop BB9_3 Depth=1
                                        ; =>  This Inner Loop Header: Depth=2
	v_ashrrev_i32_e32 v7, 31, v6
	s_delay_alu instid0(VALU_DEP_1) | instskip(NEXT) | instid1(VALU_DEP_1)
	v_mul_u64_e32 v[16:17], s[8:9], v[6:7]
	v_lshl_add_u64 v[16:17], v[16:17], 3, v[8:9]
	global_load_b64 v[18:19], v[16:17], off
	global_load_b64 v[20:21], v[10:11], off
	s_wait_xcnt 0x1
	v_mul_u64_e32 v[16:17], s[24:25], v[6:7]
	v_add_nc_u32_e32 v6, s5, v6
	s_delay_alu instid0(VALU_DEP_1) | instskip(SKIP_1) | instid1(VALU_DEP_3)
	v_cmp_le_i32_e32 vcc_lo, s3, v6
	s_or_b32 s6, vcc_lo, s6
	v_lshl_add_u64 v[16:17], v[16:17], 3, v[12:13]
	s_wait_loadcnt 0x0
	v_pk_mul_f32 v[22:23], v[20:21], v[18:19] op_sel:[1,1] op_sel_hi:[0,1]
	s_delay_alu instid0(VALU_DEP_1) | instskip(SKIP_1) | instid1(VALU_DEP_2)
	v_pk_fma_f32 v[24:25], v[20:21], v[18:19], v[22:23] op_sel_hi:[1,0,1]
	v_pk_fma_f32 v[18:19], v[20:21], v[18:19], v[22:23] neg_lo:[0,0,1] neg_hi:[0,0,1]
	v_mov_b32_e32 v19, v25
	global_store_b64 v[16:17], v[18:19], off
	s_wait_xcnt 0x0
	s_and_not1_b32 exec_lo, exec_lo, s6
	s_cbranch_execnz .LBB9_5
	s_branch .LBB9_2
.LBB9_6:
	s_endpgm
	.section	.rodata,"a",@progbits
	.p2align	6, 0x0
	.amdhsa_kernel _ZL19rocblas_dgmm_kernelILi16ELi16ELb0EPK19rocblas_complex_numIfEPS1_EviiT2_lllS5_lllT3_llli
		.amdhsa_group_segment_fixed_size 0
		.amdhsa_private_segment_fixed_size 0
		.amdhsa_kernarg_size 368
		.amdhsa_user_sgpr_count 2
		.amdhsa_user_sgpr_dispatch_ptr 0
		.amdhsa_user_sgpr_queue_ptr 0
		.amdhsa_user_sgpr_kernarg_segment_ptr 1
		.amdhsa_user_sgpr_dispatch_id 0
		.amdhsa_user_sgpr_kernarg_preload_length 0
		.amdhsa_user_sgpr_kernarg_preload_offset 0
		.amdhsa_user_sgpr_private_segment_size 0
		.amdhsa_wavefront_size32 1
		.amdhsa_uses_dynamic_stack 0
		.amdhsa_enable_private_segment 0
		.amdhsa_system_sgpr_workgroup_id_x 1
		.amdhsa_system_sgpr_workgroup_id_y 1
		.amdhsa_system_sgpr_workgroup_id_z 1
		.amdhsa_system_sgpr_workgroup_info 0
		.amdhsa_system_vgpr_workitem_id 1
		.amdhsa_next_free_vgpr 26
		.amdhsa_next_free_sgpr 34
		.amdhsa_named_barrier_count 0
		.amdhsa_reserve_vcc 1
		.amdhsa_float_round_mode_32 0
		.amdhsa_float_round_mode_16_64 0
		.amdhsa_float_denorm_mode_32 3
		.amdhsa_float_denorm_mode_16_64 3
		.amdhsa_fp16_overflow 0
		.amdhsa_memory_ordered 1
		.amdhsa_forward_progress 1
		.amdhsa_inst_pref_size 5
		.amdhsa_round_robin_scheduling 0
		.amdhsa_exception_fp_ieee_invalid_op 0
		.amdhsa_exception_fp_denorm_src 0
		.amdhsa_exception_fp_ieee_div_zero 0
		.amdhsa_exception_fp_ieee_overflow 0
		.amdhsa_exception_fp_ieee_underflow 0
		.amdhsa_exception_fp_ieee_inexact 0
		.amdhsa_exception_int_div_zero 0
	.end_amdhsa_kernel
	.section	.text._ZL19rocblas_dgmm_kernelILi16ELi16ELb0EPK19rocblas_complex_numIfEPS1_EviiT2_lllS5_lllT3_llli,"axG",@progbits,_ZL19rocblas_dgmm_kernelILi16ELi16ELb0EPK19rocblas_complex_numIfEPS1_EviiT2_lllS5_lllT3_llli,comdat
.Lfunc_end9:
	.size	_ZL19rocblas_dgmm_kernelILi16ELi16ELb0EPK19rocblas_complex_numIfEPS1_EviiT2_lllS5_lllT3_llli, .Lfunc_end9-_ZL19rocblas_dgmm_kernelILi16ELi16ELb0EPK19rocblas_complex_numIfEPS1_EviiT2_lllS5_lllT3_llli
                                        ; -- End function
	.set _ZL19rocblas_dgmm_kernelILi16ELi16ELb0EPK19rocblas_complex_numIfEPS1_EviiT2_lllS5_lllT3_llli.num_vgpr, 26
	.set _ZL19rocblas_dgmm_kernelILi16ELi16ELb0EPK19rocblas_complex_numIfEPS1_EviiT2_lllS5_lllT3_llli.num_agpr, 0
	.set _ZL19rocblas_dgmm_kernelILi16ELi16ELb0EPK19rocblas_complex_numIfEPS1_EviiT2_lllS5_lllT3_llli.numbered_sgpr, 34
	.set _ZL19rocblas_dgmm_kernelILi16ELi16ELb0EPK19rocblas_complex_numIfEPS1_EviiT2_lllS5_lllT3_llli.num_named_barrier, 0
	.set _ZL19rocblas_dgmm_kernelILi16ELi16ELb0EPK19rocblas_complex_numIfEPS1_EviiT2_lllS5_lllT3_llli.private_seg_size, 0
	.set _ZL19rocblas_dgmm_kernelILi16ELi16ELb0EPK19rocblas_complex_numIfEPS1_EviiT2_lllS5_lllT3_llli.uses_vcc, 1
	.set _ZL19rocblas_dgmm_kernelILi16ELi16ELb0EPK19rocblas_complex_numIfEPS1_EviiT2_lllS5_lllT3_llli.uses_flat_scratch, 0
	.set _ZL19rocblas_dgmm_kernelILi16ELi16ELb0EPK19rocblas_complex_numIfEPS1_EviiT2_lllS5_lllT3_llli.has_dyn_sized_stack, 0
	.set _ZL19rocblas_dgmm_kernelILi16ELi16ELb0EPK19rocblas_complex_numIfEPS1_EviiT2_lllS5_lllT3_llli.has_recursion, 0
	.set _ZL19rocblas_dgmm_kernelILi16ELi16ELb0EPK19rocblas_complex_numIfEPS1_EviiT2_lllS5_lllT3_llli.has_indirect_call, 0
	.section	.AMDGPU.csdata,"",@progbits
; Kernel info:
; codeLenInByte = 532
; TotalNumSgprs: 36
; NumVgprs: 26
; ScratchSize: 0
; MemoryBound: 0
; FloatMode: 240
; IeeeMode: 1
; LDSByteSize: 0 bytes/workgroup (compile time only)
; SGPRBlocks: 0
; VGPRBlocks: 1
; NumSGPRsForWavesPerEU: 36
; NumVGPRsForWavesPerEU: 26
; NamedBarCnt: 0
; Occupancy: 16
; WaveLimiterHint : 0
; COMPUTE_PGM_RSRC2:SCRATCH_EN: 0
; COMPUTE_PGM_RSRC2:USER_SGPR: 2
; COMPUTE_PGM_RSRC2:TRAP_HANDLER: 0
; COMPUTE_PGM_RSRC2:TGID_X_EN: 1
; COMPUTE_PGM_RSRC2:TGID_Y_EN: 1
; COMPUTE_PGM_RSRC2:TGID_Z_EN: 1
; COMPUTE_PGM_RSRC2:TIDIG_COMP_CNT: 1
	.section	.text._ZL26rocblas_dgmm_gfx942_kernelILi32ELi32ELb1EPK19rocblas_complex_numIfEPS1_EviiT2_lllS5_lllT3_lll,"axG",@progbits,_ZL26rocblas_dgmm_gfx942_kernelILi32ELi32ELb1EPK19rocblas_complex_numIfEPS1_EviiT2_lllS5_lllT3_lll,comdat
	.globl	_ZL26rocblas_dgmm_gfx942_kernelILi32ELi32ELb1EPK19rocblas_complex_numIfEPS1_EviiT2_lllS5_lllT3_lll ; -- Begin function _ZL26rocblas_dgmm_gfx942_kernelILi32ELi32ELb1EPK19rocblas_complex_numIfEPS1_EviiT2_lllS5_lllT3_lll
	.p2align	8
	.type	_ZL26rocblas_dgmm_gfx942_kernelILi32ELi32ELb1EPK19rocblas_complex_numIfEPS1_EviiT2_lllS5_lllT3_lll,@function
_ZL26rocblas_dgmm_gfx942_kernelILi32ELi32ELb1EPK19rocblas_complex_numIfEPS1_EviiT2_lllS5_lllT3_lll: ; @_ZL26rocblas_dgmm_gfx942_kernelILi32ELi32ELb1EPK19rocblas_complex_numIfEPS1_EviiT2_lllS5_lllT3_lll
; %bb.0:
	s_endpgm
	.section	.rodata,"a",@progbits
	.p2align	6, 0x0
	.amdhsa_kernel _ZL26rocblas_dgmm_gfx942_kernelILi32ELi32ELb1EPK19rocblas_complex_numIfEPS1_EviiT2_lllS5_lllT3_lll
		.amdhsa_group_segment_fixed_size 0
		.amdhsa_private_segment_fixed_size 0
		.amdhsa_kernarg_size 104
		.amdhsa_user_sgpr_count 2
		.amdhsa_user_sgpr_dispatch_ptr 0
		.amdhsa_user_sgpr_queue_ptr 0
		.amdhsa_user_sgpr_kernarg_segment_ptr 1
		.amdhsa_user_sgpr_dispatch_id 0
		.amdhsa_user_sgpr_kernarg_preload_length 0
		.amdhsa_user_sgpr_kernarg_preload_offset 0
		.amdhsa_user_sgpr_private_segment_size 0
		.amdhsa_wavefront_size32 1
		.amdhsa_uses_dynamic_stack 0
		.amdhsa_enable_private_segment 0
		.amdhsa_system_sgpr_workgroup_id_x 1
		.amdhsa_system_sgpr_workgroup_id_y 0
		.amdhsa_system_sgpr_workgroup_id_z 0
		.amdhsa_system_sgpr_workgroup_info 0
		.amdhsa_system_vgpr_workitem_id 0
		.amdhsa_next_free_vgpr 1
		.amdhsa_next_free_sgpr 1
		.amdhsa_named_barrier_count 0
		.amdhsa_reserve_vcc 0
		.amdhsa_float_round_mode_32 0
		.amdhsa_float_round_mode_16_64 0
		.amdhsa_float_denorm_mode_32 3
		.amdhsa_float_denorm_mode_16_64 3
		.amdhsa_fp16_overflow 0
		.amdhsa_memory_ordered 1
		.amdhsa_forward_progress 1
		.amdhsa_inst_pref_size 1
		.amdhsa_round_robin_scheduling 0
		.amdhsa_exception_fp_ieee_invalid_op 0
		.amdhsa_exception_fp_denorm_src 0
		.amdhsa_exception_fp_ieee_div_zero 0
		.amdhsa_exception_fp_ieee_overflow 0
		.amdhsa_exception_fp_ieee_underflow 0
		.amdhsa_exception_fp_ieee_inexact 0
		.amdhsa_exception_int_div_zero 0
	.end_amdhsa_kernel
	.section	.text._ZL26rocblas_dgmm_gfx942_kernelILi32ELi32ELb1EPK19rocblas_complex_numIfEPS1_EviiT2_lllS5_lllT3_lll,"axG",@progbits,_ZL26rocblas_dgmm_gfx942_kernelILi32ELi32ELb1EPK19rocblas_complex_numIfEPS1_EviiT2_lllS5_lllT3_lll,comdat
.Lfunc_end10:
	.size	_ZL26rocblas_dgmm_gfx942_kernelILi32ELi32ELb1EPK19rocblas_complex_numIfEPS1_EviiT2_lllS5_lllT3_lll, .Lfunc_end10-_ZL26rocblas_dgmm_gfx942_kernelILi32ELi32ELb1EPK19rocblas_complex_numIfEPS1_EviiT2_lllS5_lllT3_lll
                                        ; -- End function
	.set _ZL26rocblas_dgmm_gfx942_kernelILi32ELi32ELb1EPK19rocblas_complex_numIfEPS1_EviiT2_lllS5_lllT3_lll.num_vgpr, 0
	.set _ZL26rocblas_dgmm_gfx942_kernelILi32ELi32ELb1EPK19rocblas_complex_numIfEPS1_EviiT2_lllS5_lllT3_lll.num_agpr, 0
	.set _ZL26rocblas_dgmm_gfx942_kernelILi32ELi32ELb1EPK19rocblas_complex_numIfEPS1_EviiT2_lllS5_lllT3_lll.numbered_sgpr, 0
	.set _ZL26rocblas_dgmm_gfx942_kernelILi32ELi32ELb1EPK19rocblas_complex_numIfEPS1_EviiT2_lllS5_lllT3_lll.num_named_barrier, 0
	.set _ZL26rocblas_dgmm_gfx942_kernelILi32ELi32ELb1EPK19rocblas_complex_numIfEPS1_EviiT2_lllS5_lllT3_lll.private_seg_size, 0
	.set _ZL26rocblas_dgmm_gfx942_kernelILi32ELi32ELb1EPK19rocblas_complex_numIfEPS1_EviiT2_lllS5_lllT3_lll.uses_vcc, 0
	.set _ZL26rocblas_dgmm_gfx942_kernelILi32ELi32ELb1EPK19rocblas_complex_numIfEPS1_EviiT2_lllS5_lllT3_lll.uses_flat_scratch, 0
	.set _ZL26rocblas_dgmm_gfx942_kernelILi32ELi32ELb1EPK19rocblas_complex_numIfEPS1_EviiT2_lllS5_lllT3_lll.has_dyn_sized_stack, 0
	.set _ZL26rocblas_dgmm_gfx942_kernelILi32ELi32ELb1EPK19rocblas_complex_numIfEPS1_EviiT2_lllS5_lllT3_lll.has_recursion, 0
	.set _ZL26rocblas_dgmm_gfx942_kernelILi32ELi32ELb1EPK19rocblas_complex_numIfEPS1_EviiT2_lllS5_lllT3_lll.has_indirect_call, 0
	.section	.AMDGPU.csdata,"",@progbits
; Kernel info:
; codeLenInByte = 4
; TotalNumSgprs: 0
; NumVgprs: 0
; ScratchSize: 0
; MemoryBound: 0
; FloatMode: 240
; IeeeMode: 1
; LDSByteSize: 0 bytes/workgroup (compile time only)
; SGPRBlocks: 0
; VGPRBlocks: 0
; NumSGPRsForWavesPerEU: 1
; NumVGPRsForWavesPerEU: 1
; NamedBarCnt: 0
; Occupancy: 16
; WaveLimiterHint : 0
; COMPUTE_PGM_RSRC2:SCRATCH_EN: 0
; COMPUTE_PGM_RSRC2:USER_SGPR: 2
; COMPUTE_PGM_RSRC2:TRAP_HANDLER: 0
; COMPUTE_PGM_RSRC2:TGID_X_EN: 1
; COMPUTE_PGM_RSRC2:TGID_Y_EN: 0
; COMPUTE_PGM_RSRC2:TGID_Z_EN: 0
; COMPUTE_PGM_RSRC2:TIDIG_COMP_CNT: 0
	.section	.text._ZL19rocblas_dgmm_kernelILi16ELi16ELb1EPK19rocblas_complex_numIfEPS1_EviiT2_lllS5_lllT3_llli,"axG",@progbits,_ZL19rocblas_dgmm_kernelILi16ELi16ELb1EPK19rocblas_complex_numIfEPS1_EviiT2_lllS5_lllT3_llli,comdat
	.globl	_ZL19rocblas_dgmm_kernelILi16ELi16ELb1EPK19rocblas_complex_numIfEPS1_EviiT2_lllS5_lllT3_llli ; -- Begin function _ZL19rocblas_dgmm_kernelILi16ELi16ELb1EPK19rocblas_complex_numIfEPS1_EviiT2_lllS5_lllT3_llli
	.p2align	8
	.type	_ZL19rocblas_dgmm_kernelILi16ELi16ELb1EPK19rocblas_complex_numIfEPS1_EviiT2_lllS5_lllT3_llli,@function
_ZL19rocblas_dgmm_kernelILi16ELi16ELb1EPK19rocblas_complex_numIfEPS1_EviiT2_lllS5_lllT3_llli: ; @_ZL19rocblas_dgmm_kernelILi16ELi16ELb1EPK19rocblas_complex_numIfEPS1_EviiT2_lllS5_lllT3_llli
; %bb.0:
	s_load_b32 s30, s[0:1], 0x68
	s_bfe_u32 s2, ttmp6, 0x40014
	s_lshr_b32 s3, ttmp7, 16
	s_add_co_i32 s2, s2, 1
	s_bfe_u32 s4, ttmp6, 0x40008
	s_mul_i32 s2, s3, s2
	s_getreg_b32 s31, hwreg(HW_REG_IB_STS2, 6, 4)
	s_add_co_i32 s4, s4, s2
	s_cmp_eq_u32 s31, 0
	s_mov_b32 s29, 0
	s_cselect_b32 s28, s3, s4
	s_wait_kmcnt 0x0
	s_cmp_ge_u32 s28, s30
	s_cbranch_scc1 .LBB11_6
; %bb.1:
	s_bfe_u32 s20, ttmp6, 0x40010
	s_bfe_u32 s35, ttmp6, 0x4000c
	s_and_b32 s33, ttmp7, 0xffff
	s_add_co_i32 s34, s20, 1
	s_add_co_i32 s35, s35, 1
	s_clause 0x2
	s_load_b64 s[2:3], s[0:1], 0x0
	s_load_b512 s[4:19], s[0:1], 0x8
	s_load_b256 s[20:27], s[0:1], 0x48
	s_mul_i32 s34, s33, s34
	s_bfe_u32 s36, ttmp6, 0x40004
	s_and_b32 s37, ttmp6, 15
	s_mul_i32 s35, ttmp9, s35
	s_add_co_i32 s36, s36, s34
	s_add_co_i32 s37, s37, s35
	v_and_b32_e32 v1, 0x3ff, v0
	s_cmp_eq_u32 s31, 0
	v_bfe_u32 v0, v0, 10, 10
	s_cselect_b32 s31, ttmp9, s37
	s_wait_xcnt 0x0
	s_add_nc_u64 s[0:1], s[0:1], 0x70
	v_lshl_add_u32 v2, s31, 4, v1
	s_cselect_b32 s31, s33, s36
	s_delay_alu instid0(SALU_CYCLE_1) | instskip(NEXT) | instid1(VALU_DEP_2)
	v_lshl_add_u32 v10, s31, 4, v0
	v_ashrrev_i32_e32 v3, 31, v2
	s_wait_kmcnt 0x0
	v_cmp_gt_i32_e32 vcc_lo, s2, v2
	s_lshl_b64 s[6:7], s[6:7], 3
	s_lshl_b64 s[22:23], s[22:23], 3
	s_add_nc_u64 s[4:5], s[4:5], s[6:7]
	v_lshlrev_b64_e32 v[4:5], 3, v[2:3]
	s_add_nc_u64 s[6:7], s[20:21], s[22:23]
	v_cmp_gt_i32_e64 s2, s3, v10
	s_delay_alu instid0(VALU_DEP_2)
	v_add_nc_u64_e32 v[0:1], s[4:5], v[4:5]
	v_add_nc_u64_e32 v[2:3], s[6:7], v[4:5]
	s_lshl_b64 s[4:5], s[14:15], 3
	s_and_b32 s2, vcc_lo, s2
	s_add_nc_u64 s[4:5], s[12:13], s[4:5]
	s_branch .LBB11_3
.LBB11_2:                               ;   in Loop: Header=BB11_3 Depth=1
	s_or_b32 exec_lo, exec_lo, s12
	s_add_co_i32 s28, s28, 0x10000
	s_delay_alu instid0(SALU_CYCLE_1)
	s_cmp_ge_u32 s28, s30
	s_cbranch_scc1 .LBB11_6
.LBB11_3:                               ; =>This Loop Header: Depth=1
                                        ;     Child Loop BB11_5 Depth 2
	s_and_saveexec_b32 s12, s2
	s_cbranch_execz .LBB11_2
; %bb.4:                                ;   in Loop: Header=BB11_3 Depth=1
	s_load_b32 s13, s[0:1], 0x4
	s_mul_u64 s[6:7], s[10:11], s[28:29]
	s_mul_u64 s[20:21], s[26:27], s[28:29]
	;; [unrolled: 1-line block ×3, first 2 shown]
	v_mov_b32_e32 v4, v10
	v_lshl_add_u64 v[6:7], s[6:7], 3, v[0:1]
	v_lshl_add_u64 v[8:9], s[20:21], 3, v[2:3]
	s_lshl_b64 s[14:15], s[14:15], 3
	s_delay_alu instid0(SALU_CYCLE_1)
	s_add_nc_u64 s[6:7], s[4:5], s[14:15]
	s_mov_b32 s14, 0
	s_wait_kmcnt 0x0
	s_lshl_b32 s13, s13, 4
.LBB11_5:                               ;   Parent Loop BB11_3 Depth=1
                                        ; =>  This Inner Loop Header: Depth=2
	v_ashrrev_i32_e32 v5, 31, v4
	s_delay_alu instid0(VALU_DEP_1) | instskip(SKIP_1) | instid1(VALU_DEP_2)
	v_mul_u64_e32 v[12:13], s[8:9], v[4:5]
	v_mul_u64_e32 v[14:15], s[16:17], v[4:5]
	v_lshl_add_u64 v[12:13], v[12:13], 3, v[6:7]
	s_delay_alu instid0(VALU_DEP_2)
	v_lshl_add_u64 v[14:15], v[14:15], 3, s[6:7]
	global_load_b64 v[16:17], v[12:13], off
	global_load_b64 v[18:19], v[14:15], off
	s_wait_xcnt 0x1
	v_mul_u64_e32 v[12:13], s[24:25], v[4:5]
	v_add_nc_u32_e32 v4, s13, v4
	s_delay_alu instid0(VALU_DEP_1) | instskip(SKIP_1) | instid1(VALU_DEP_3)
	v_cmp_le_i32_e32 vcc_lo, s3, v4
	s_or_b32 s14, vcc_lo, s14
	v_lshl_add_u64 v[12:13], v[12:13], 3, v[8:9]
	s_wait_loadcnt 0x0
	s_wait_xcnt 0x0
	v_pk_mul_f32 v[14:15], v[18:19], v[16:17] op_sel:[1,1] op_sel_hi:[0,1]
	s_delay_alu instid0(VALU_DEP_1) | instskip(SKIP_1) | instid1(VALU_DEP_2)
	v_pk_fma_f32 v[20:21], v[18:19], v[16:17], v[14:15] op_sel_hi:[1,0,1]
	v_pk_fma_f32 v[14:15], v[18:19], v[16:17], v[14:15] neg_lo:[0,0,1] neg_hi:[0,0,1]
	v_mov_b32_e32 v15, v21
	global_store_b64 v[12:13], v[14:15], off
	s_wait_xcnt 0x0
	s_and_not1_b32 exec_lo, exec_lo, s14
	s_cbranch_execnz .LBB11_5
	s_branch .LBB11_2
.LBB11_6:
	s_endpgm
	.section	.rodata,"a",@progbits
	.p2align	6, 0x0
	.amdhsa_kernel _ZL19rocblas_dgmm_kernelILi16ELi16ELb1EPK19rocblas_complex_numIfEPS1_EviiT2_lllS5_lllT3_llli
		.amdhsa_group_segment_fixed_size 0
		.amdhsa_private_segment_fixed_size 0
		.amdhsa_kernarg_size 368
		.amdhsa_user_sgpr_count 2
		.amdhsa_user_sgpr_dispatch_ptr 0
		.amdhsa_user_sgpr_queue_ptr 0
		.amdhsa_user_sgpr_kernarg_segment_ptr 1
		.amdhsa_user_sgpr_dispatch_id 0
		.amdhsa_user_sgpr_kernarg_preload_length 0
		.amdhsa_user_sgpr_kernarg_preload_offset 0
		.amdhsa_user_sgpr_private_segment_size 0
		.amdhsa_wavefront_size32 1
		.amdhsa_uses_dynamic_stack 0
		.amdhsa_enable_private_segment 0
		.amdhsa_system_sgpr_workgroup_id_x 1
		.amdhsa_system_sgpr_workgroup_id_y 1
		.amdhsa_system_sgpr_workgroup_id_z 1
		.amdhsa_system_sgpr_workgroup_info 0
		.amdhsa_system_vgpr_workitem_id 1
		.amdhsa_next_free_vgpr 22
		.amdhsa_next_free_sgpr 38
		.amdhsa_named_barrier_count 0
		.amdhsa_reserve_vcc 1
		.amdhsa_float_round_mode_32 0
		.amdhsa_float_round_mode_16_64 0
		.amdhsa_float_denorm_mode_32 3
		.amdhsa_float_denorm_mode_16_64 3
		.amdhsa_fp16_overflow 0
		.amdhsa_memory_ordered 1
		.amdhsa_forward_progress 1
		.amdhsa_inst_pref_size 5
		.amdhsa_round_robin_scheduling 0
		.amdhsa_exception_fp_ieee_invalid_op 0
		.amdhsa_exception_fp_denorm_src 0
		.amdhsa_exception_fp_ieee_div_zero 0
		.amdhsa_exception_fp_ieee_overflow 0
		.amdhsa_exception_fp_ieee_underflow 0
		.amdhsa_exception_fp_ieee_inexact 0
		.amdhsa_exception_int_div_zero 0
	.end_amdhsa_kernel
	.section	.text._ZL19rocblas_dgmm_kernelILi16ELi16ELb1EPK19rocblas_complex_numIfEPS1_EviiT2_lllS5_lllT3_llli,"axG",@progbits,_ZL19rocblas_dgmm_kernelILi16ELi16ELb1EPK19rocblas_complex_numIfEPS1_EviiT2_lllS5_lllT3_llli,comdat
.Lfunc_end11:
	.size	_ZL19rocblas_dgmm_kernelILi16ELi16ELb1EPK19rocblas_complex_numIfEPS1_EviiT2_lllS5_lllT3_llli, .Lfunc_end11-_ZL19rocblas_dgmm_kernelILi16ELi16ELb1EPK19rocblas_complex_numIfEPS1_EviiT2_lllS5_lllT3_llli
                                        ; -- End function
	.set _ZL19rocblas_dgmm_kernelILi16ELi16ELb1EPK19rocblas_complex_numIfEPS1_EviiT2_lllS5_lllT3_llli.num_vgpr, 22
	.set _ZL19rocblas_dgmm_kernelILi16ELi16ELb1EPK19rocblas_complex_numIfEPS1_EviiT2_lllS5_lllT3_llli.num_agpr, 0
	.set _ZL19rocblas_dgmm_kernelILi16ELi16ELb1EPK19rocblas_complex_numIfEPS1_EviiT2_lllS5_lllT3_llli.numbered_sgpr, 38
	.set _ZL19rocblas_dgmm_kernelILi16ELi16ELb1EPK19rocblas_complex_numIfEPS1_EviiT2_lllS5_lllT3_llli.num_named_barrier, 0
	.set _ZL19rocblas_dgmm_kernelILi16ELi16ELb1EPK19rocblas_complex_numIfEPS1_EviiT2_lllS5_lllT3_llli.private_seg_size, 0
	.set _ZL19rocblas_dgmm_kernelILi16ELi16ELb1EPK19rocblas_complex_numIfEPS1_EviiT2_lllS5_lllT3_llli.uses_vcc, 1
	.set _ZL19rocblas_dgmm_kernelILi16ELi16ELb1EPK19rocblas_complex_numIfEPS1_EviiT2_lllS5_lllT3_llli.uses_flat_scratch, 0
	.set _ZL19rocblas_dgmm_kernelILi16ELi16ELb1EPK19rocblas_complex_numIfEPS1_EviiT2_lllS5_lllT3_llli.has_dyn_sized_stack, 0
	.set _ZL19rocblas_dgmm_kernelILi16ELi16ELb1EPK19rocblas_complex_numIfEPS1_EviiT2_lllS5_lllT3_llli.has_recursion, 0
	.set _ZL19rocblas_dgmm_kernelILi16ELi16ELb1EPK19rocblas_complex_numIfEPS1_EviiT2_lllS5_lllT3_llli.has_indirect_call, 0
	.section	.AMDGPU.csdata,"",@progbits
; Kernel info:
; codeLenInByte = 544
; TotalNumSgprs: 40
; NumVgprs: 22
; ScratchSize: 0
; MemoryBound: 0
; FloatMode: 240
; IeeeMode: 1
; LDSByteSize: 0 bytes/workgroup (compile time only)
; SGPRBlocks: 0
; VGPRBlocks: 1
; NumSGPRsForWavesPerEU: 40
; NumVGPRsForWavesPerEU: 22
; NamedBarCnt: 0
; Occupancy: 16
; WaveLimiterHint : 0
; COMPUTE_PGM_RSRC2:SCRATCH_EN: 0
; COMPUTE_PGM_RSRC2:USER_SGPR: 2
; COMPUTE_PGM_RSRC2:TRAP_HANDLER: 0
; COMPUTE_PGM_RSRC2:TGID_X_EN: 1
; COMPUTE_PGM_RSRC2:TGID_Y_EN: 1
; COMPUTE_PGM_RSRC2:TGID_Z_EN: 1
; COMPUTE_PGM_RSRC2:TIDIG_COMP_CNT: 1
	.section	.text._ZL26rocblas_dgmm_gfx942_kernelILi32ELi32ELb0EPK19rocblas_complex_numIdEPS1_EviiT2_lllS5_lllT3_lll,"axG",@progbits,_ZL26rocblas_dgmm_gfx942_kernelILi32ELi32ELb0EPK19rocblas_complex_numIdEPS1_EviiT2_lllS5_lllT3_lll,comdat
	.globl	_ZL26rocblas_dgmm_gfx942_kernelILi32ELi32ELb0EPK19rocblas_complex_numIdEPS1_EviiT2_lllS5_lllT3_lll ; -- Begin function _ZL26rocblas_dgmm_gfx942_kernelILi32ELi32ELb0EPK19rocblas_complex_numIdEPS1_EviiT2_lllS5_lllT3_lll
	.p2align	8
	.type	_ZL26rocblas_dgmm_gfx942_kernelILi32ELi32ELb0EPK19rocblas_complex_numIdEPS1_EviiT2_lllS5_lllT3_lll,@function
_ZL26rocblas_dgmm_gfx942_kernelILi32ELi32ELb0EPK19rocblas_complex_numIdEPS1_EviiT2_lllS5_lllT3_lll: ; @_ZL26rocblas_dgmm_gfx942_kernelILi32ELi32ELb0EPK19rocblas_complex_numIdEPS1_EviiT2_lllS5_lllT3_lll
; %bb.0:
	s_endpgm
	.section	.rodata,"a",@progbits
	.p2align	6, 0x0
	.amdhsa_kernel _ZL26rocblas_dgmm_gfx942_kernelILi32ELi32ELb0EPK19rocblas_complex_numIdEPS1_EviiT2_lllS5_lllT3_lll
		.amdhsa_group_segment_fixed_size 0
		.amdhsa_private_segment_fixed_size 0
		.amdhsa_kernarg_size 104
		.amdhsa_user_sgpr_count 2
		.amdhsa_user_sgpr_dispatch_ptr 0
		.amdhsa_user_sgpr_queue_ptr 0
		.amdhsa_user_sgpr_kernarg_segment_ptr 1
		.amdhsa_user_sgpr_dispatch_id 0
		.amdhsa_user_sgpr_kernarg_preload_length 0
		.amdhsa_user_sgpr_kernarg_preload_offset 0
		.amdhsa_user_sgpr_private_segment_size 0
		.amdhsa_wavefront_size32 1
		.amdhsa_uses_dynamic_stack 0
		.amdhsa_enable_private_segment 0
		.amdhsa_system_sgpr_workgroup_id_x 1
		.amdhsa_system_sgpr_workgroup_id_y 0
		.amdhsa_system_sgpr_workgroup_id_z 0
		.amdhsa_system_sgpr_workgroup_info 0
		.amdhsa_system_vgpr_workitem_id 0
		.amdhsa_next_free_vgpr 1
		.amdhsa_next_free_sgpr 1
		.amdhsa_named_barrier_count 0
		.amdhsa_reserve_vcc 0
		.amdhsa_float_round_mode_32 0
		.amdhsa_float_round_mode_16_64 0
		.amdhsa_float_denorm_mode_32 3
		.amdhsa_float_denorm_mode_16_64 3
		.amdhsa_fp16_overflow 0
		.amdhsa_memory_ordered 1
		.amdhsa_forward_progress 1
		.amdhsa_inst_pref_size 1
		.amdhsa_round_robin_scheduling 0
		.amdhsa_exception_fp_ieee_invalid_op 0
		.amdhsa_exception_fp_denorm_src 0
		.amdhsa_exception_fp_ieee_div_zero 0
		.amdhsa_exception_fp_ieee_overflow 0
		.amdhsa_exception_fp_ieee_underflow 0
		.amdhsa_exception_fp_ieee_inexact 0
		.amdhsa_exception_int_div_zero 0
	.end_amdhsa_kernel
	.section	.text._ZL26rocblas_dgmm_gfx942_kernelILi32ELi32ELb0EPK19rocblas_complex_numIdEPS1_EviiT2_lllS5_lllT3_lll,"axG",@progbits,_ZL26rocblas_dgmm_gfx942_kernelILi32ELi32ELb0EPK19rocblas_complex_numIdEPS1_EviiT2_lllS5_lllT3_lll,comdat
.Lfunc_end12:
	.size	_ZL26rocblas_dgmm_gfx942_kernelILi32ELi32ELb0EPK19rocblas_complex_numIdEPS1_EviiT2_lllS5_lllT3_lll, .Lfunc_end12-_ZL26rocblas_dgmm_gfx942_kernelILi32ELi32ELb0EPK19rocblas_complex_numIdEPS1_EviiT2_lllS5_lllT3_lll
                                        ; -- End function
	.set _ZL26rocblas_dgmm_gfx942_kernelILi32ELi32ELb0EPK19rocblas_complex_numIdEPS1_EviiT2_lllS5_lllT3_lll.num_vgpr, 0
	.set _ZL26rocblas_dgmm_gfx942_kernelILi32ELi32ELb0EPK19rocblas_complex_numIdEPS1_EviiT2_lllS5_lllT3_lll.num_agpr, 0
	.set _ZL26rocblas_dgmm_gfx942_kernelILi32ELi32ELb0EPK19rocblas_complex_numIdEPS1_EviiT2_lllS5_lllT3_lll.numbered_sgpr, 0
	.set _ZL26rocblas_dgmm_gfx942_kernelILi32ELi32ELb0EPK19rocblas_complex_numIdEPS1_EviiT2_lllS5_lllT3_lll.num_named_barrier, 0
	.set _ZL26rocblas_dgmm_gfx942_kernelILi32ELi32ELb0EPK19rocblas_complex_numIdEPS1_EviiT2_lllS5_lllT3_lll.private_seg_size, 0
	.set _ZL26rocblas_dgmm_gfx942_kernelILi32ELi32ELb0EPK19rocblas_complex_numIdEPS1_EviiT2_lllS5_lllT3_lll.uses_vcc, 0
	.set _ZL26rocblas_dgmm_gfx942_kernelILi32ELi32ELb0EPK19rocblas_complex_numIdEPS1_EviiT2_lllS5_lllT3_lll.uses_flat_scratch, 0
	.set _ZL26rocblas_dgmm_gfx942_kernelILi32ELi32ELb0EPK19rocblas_complex_numIdEPS1_EviiT2_lllS5_lllT3_lll.has_dyn_sized_stack, 0
	.set _ZL26rocblas_dgmm_gfx942_kernelILi32ELi32ELb0EPK19rocblas_complex_numIdEPS1_EviiT2_lllS5_lllT3_lll.has_recursion, 0
	.set _ZL26rocblas_dgmm_gfx942_kernelILi32ELi32ELb0EPK19rocblas_complex_numIdEPS1_EviiT2_lllS5_lllT3_lll.has_indirect_call, 0
	.section	.AMDGPU.csdata,"",@progbits
; Kernel info:
; codeLenInByte = 4
; TotalNumSgprs: 0
; NumVgprs: 0
; ScratchSize: 0
; MemoryBound: 0
; FloatMode: 240
; IeeeMode: 1
; LDSByteSize: 0 bytes/workgroup (compile time only)
; SGPRBlocks: 0
; VGPRBlocks: 0
; NumSGPRsForWavesPerEU: 1
; NumVGPRsForWavesPerEU: 1
; NamedBarCnt: 0
; Occupancy: 16
; WaveLimiterHint : 0
; COMPUTE_PGM_RSRC2:SCRATCH_EN: 0
; COMPUTE_PGM_RSRC2:USER_SGPR: 2
; COMPUTE_PGM_RSRC2:TRAP_HANDLER: 0
; COMPUTE_PGM_RSRC2:TGID_X_EN: 1
; COMPUTE_PGM_RSRC2:TGID_Y_EN: 0
; COMPUTE_PGM_RSRC2:TGID_Z_EN: 0
; COMPUTE_PGM_RSRC2:TIDIG_COMP_CNT: 0
	.section	.text._ZL19rocblas_dgmm_kernelILi16ELi16ELb0EPK19rocblas_complex_numIdEPS1_EviiT2_lllS5_lllT3_llli,"axG",@progbits,_ZL19rocblas_dgmm_kernelILi16ELi16ELb0EPK19rocblas_complex_numIdEPS1_EviiT2_lllS5_lllT3_llli,comdat
	.globl	_ZL19rocblas_dgmm_kernelILi16ELi16ELb0EPK19rocblas_complex_numIdEPS1_EviiT2_lllS5_lllT3_llli ; -- Begin function _ZL19rocblas_dgmm_kernelILi16ELi16ELb0EPK19rocblas_complex_numIdEPS1_EviiT2_lllS5_lllT3_llli
	.p2align	8
	.type	_ZL19rocblas_dgmm_kernelILi16ELi16ELb0EPK19rocblas_complex_numIdEPS1_EviiT2_lllS5_lllT3_llli,@function
_ZL19rocblas_dgmm_kernelILi16ELi16ELb0EPK19rocblas_complex_numIdEPS1_EviiT2_lllS5_lllT3_llli: ; @_ZL19rocblas_dgmm_kernelILi16ELi16ELb0EPK19rocblas_complex_numIdEPS1_EviiT2_lllS5_lllT3_llli
; %bb.0:
	s_load_b32 s30, s[0:1], 0x68
	s_bfe_u32 s2, ttmp6, 0x40014
	s_lshr_b32 s3, ttmp7, 16
	s_add_co_i32 s2, s2, 1
	s_bfe_u32 s5, ttmp6, 0x40008
	s_mul_i32 s4, s3, s2
	s_getreg_b32 s2, hwreg(HW_REG_IB_STS2, 6, 4)
	s_add_co_i32 s5, s5, s4
	s_cmp_eq_u32 s2, 0
	s_mov_b32 s29, 0
	s_cselect_b32 s28, s3, s5
	s_wait_kmcnt 0x0
	s_cmp_ge_u32 s28, s30
	s_cbranch_scc1 .LBB13_6
; %bb.1:
	s_bfe_u32 s3, ttmp6, 0x40010
	s_bfe_u32 s20, ttmp6, 0x4000c
	s_load_b512 s[4:19], s[0:1], 0x8
	s_and_b32 s31, ttmp7, 0xffff
	s_add_co_i32 s3, s3, 1
	s_add_co_i32 s20, s20, 1
	s_mul_i32 s3, s31, s3
	s_bfe_u32 s21, ttmp6, 0x40004
	s_and_b32 s22, ttmp6, 15
	s_mul_i32 s20, ttmp9, s20
	s_add_co_i32 s33, s21, s3
	s_add_co_i32 s22, s22, s20
	v_and_b32_e32 v1, 0x3ff, v0
	s_cmp_eq_u32 s2, 0
	v_bfe_u32 v0, v0, 10, 10
	s_cselect_b32 s2, ttmp9, s22
	s_load_b256 s[20:27], s[0:1], 0x48
	v_lshl_add_u32 v2, s2, 4, v1
	s_load_b64 s[2:3], s[0:1], 0x0
	s_wait_xcnt 0x0
	s_add_nc_u64 s[0:1], s[0:1], 0x70
	s_delay_alu instid0(VALU_DEP_1) | instskip(SKIP_1) | instid1(VALU_DEP_1)
	v_ashrrev_i32_e32 v3, 31, v2
	s_wait_kmcnt 0x0
	v_mul_u64_e32 v[4:5], s[16:17], v[2:3]
	s_cselect_b32 s16, s31, s33
	s_lshl_b64 s[6:7], s[6:7], 4
	v_lshl_add_u32 v14, s16, 4, v0
	s_add_nc_u64 s[4:5], s[4:5], s[6:7]
	s_lshl_b64 s[6:7], s[14:15], 4
	s_delay_alu instid0(SALU_CYCLE_1)
	s_add_nc_u64 s[6:7], s[12:13], s[6:7]
	s_lshl_b64 s[14:15], s[22:23], 4
	v_cmp_gt_i32_e32 vcc_lo, s2, v2
	v_lshlrev_b64_e32 v[2:3], 4, v[2:3]
	s_add_nc_u64 s[12:13], s[20:21], s[14:15]
	v_cmp_gt_i32_e64 s2, s3, v14
	s_delay_alu instid0(VALU_DEP_2)
	v_add_nc_u64_e32 v[0:1], s[4:5], v[2:3]
	v_add_nc_u64_e32 v[2:3], s[12:13], v[2:3]
	s_and_b32 s2, vcc_lo, s2
	v_lshl_add_u64 v[4:5], v[4:5], 4, s[6:7]
	s_branch .LBB13_3
.LBB13_2:                               ;   in Loop: Header=BB13_3 Depth=1
	s_or_b32 exec_lo, exec_lo, s4
	s_add_co_i32 s28, s28, 0x10000
	s_delay_alu instid0(SALU_CYCLE_1)
	s_cmp_ge_u32 s28, s30
	s_cbranch_scc1 .LBB13_6
.LBB13_3:                               ; =>This Loop Header: Depth=1
                                        ;     Child Loop BB13_5 Depth 2
	s_and_saveexec_b32 s4, s2
	s_cbranch_execz .LBB13_2
; %bb.4:                                ;   in Loop: Header=BB13_3 Depth=1
	s_load_b32 s5, s[0:1], 0x4
	s_mul_u64 s[6:7], s[10:11], s[28:29]
	s_mul_u64 s[12:13], s[18:19], s[28:29]
	;; [unrolled: 1-line block ×3, first 2 shown]
	v_mov_b32_e32 v6, v14
	v_lshl_add_u64 v[8:9], s[6:7], 4, v[0:1]
	v_lshl_add_u64 v[10:11], s[12:13], 4, v[4:5]
	;; [unrolled: 1-line block ×3, first 2 shown]
	s_mov_b32 s6, 0
	s_wait_kmcnt 0x0
	s_lshl_b32 s5, s5, 4
.LBB13_5:                               ;   Parent Loop BB13_3 Depth=1
                                        ; =>  This Inner Loop Header: Depth=2
	v_ashrrev_i32_e32 v7, 31, v6
	s_delay_alu instid0(VALU_DEP_1) | instskip(NEXT) | instid1(VALU_DEP_1)
	v_mul_u64_e32 v[16:17], s[8:9], v[6:7]
	v_lshl_add_u64 v[24:25], v[16:17], 4, v[8:9]
	global_load_b128 v[16:19], v[10:11], off
	global_load_b128 v[20:23], v[24:25], off
	s_wait_loadcnt 0x0
	v_mul_f64_e32 v[26:27], v[18:19], v[22:23]
	s_wait_xcnt 0x0
	v_mul_f64_e32 v[24:25], v[16:17], v[22:23]
	s_delay_alu instid0(VALU_DEP_2) | instskip(SKIP_1) | instid1(VALU_DEP_3)
	v_fma_f64 v[22:23], v[16:17], v[20:21], -v[26:27]
	v_mul_u64_e32 v[28:29], s[24:25], v[6:7]
	v_fmac_f64_e32 v[24:25], v[18:19], v[20:21]
	v_add_nc_u32_e32 v6, s5, v6
	s_delay_alu instid0(VALU_DEP_1) | instskip(SKIP_1) | instid1(VALU_DEP_4)
	v_cmp_le_i32_e32 vcc_lo, s3, v6
	s_or_b32 s6, vcc_lo, s6
	v_lshl_add_u64 v[16:17], v[28:29], 4, v[12:13]
	global_store_b128 v[16:17], v[22:25], off
	s_wait_xcnt 0x0
	s_and_not1_b32 exec_lo, exec_lo, s6
	s_cbranch_execnz .LBB13_5
	s_branch .LBB13_2
.LBB13_6:
	s_endpgm
	.section	.rodata,"a",@progbits
	.p2align	6, 0x0
	.amdhsa_kernel _ZL19rocblas_dgmm_kernelILi16ELi16ELb0EPK19rocblas_complex_numIdEPS1_EviiT2_lllS5_lllT3_llli
		.amdhsa_group_segment_fixed_size 0
		.amdhsa_private_segment_fixed_size 0
		.amdhsa_kernarg_size 368
		.amdhsa_user_sgpr_count 2
		.amdhsa_user_sgpr_dispatch_ptr 0
		.amdhsa_user_sgpr_queue_ptr 0
		.amdhsa_user_sgpr_kernarg_segment_ptr 1
		.amdhsa_user_sgpr_dispatch_id 0
		.amdhsa_user_sgpr_kernarg_preload_length 0
		.amdhsa_user_sgpr_kernarg_preload_offset 0
		.amdhsa_user_sgpr_private_segment_size 0
		.amdhsa_wavefront_size32 1
		.amdhsa_uses_dynamic_stack 0
		.amdhsa_enable_private_segment 0
		.amdhsa_system_sgpr_workgroup_id_x 1
		.amdhsa_system_sgpr_workgroup_id_y 1
		.amdhsa_system_sgpr_workgroup_id_z 1
		.amdhsa_system_sgpr_workgroup_info 0
		.amdhsa_system_vgpr_workitem_id 1
		.amdhsa_next_free_vgpr 30
		.amdhsa_next_free_sgpr 34
		.amdhsa_named_barrier_count 0
		.amdhsa_reserve_vcc 1
		.amdhsa_float_round_mode_32 0
		.amdhsa_float_round_mode_16_64 0
		.amdhsa_float_denorm_mode_32 3
		.amdhsa_float_denorm_mode_16_64 3
		.amdhsa_fp16_overflow 0
		.amdhsa_memory_ordered 1
		.amdhsa_forward_progress 1
		.amdhsa_inst_pref_size 5
		.amdhsa_round_robin_scheduling 0
		.amdhsa_exception_fp_ieee_invalid_op 0
		.amdhsa_exception_fp_denorm_src 0
		.amdhsa_exception_fp_ieee_div_zero 0
		.amdhsa_exception_fp_ieee_overflow 0
		.amdhsa_exception_fp_ieee_underflow 0
		.amdhsa_exception_fp_ieee_inexact 0
		.amdhsa_exception_int_div_zero 0
	.end_amdhsa_kernel
	.section	.text._ZL19rocblas_dgmm_kernelILi16ELi16ELb0EPK19rocblas_complex_numIdEPS1_EviiT2_lllS5_lllT3_llli,"axG",@progbits,_ZL19rocblas_dgmm_kernelILi16ELi16ELb0EPK19rocblas_complex_numIdEPS1_EviiT2_lllS5_lllT3_llli,comdat
.Lfunc_end13:
	.size	_ZL19rocblas_dgmm_kernelILi16ELi16ELb0EPK19rocblas_complex_numIdEPS1_EviiT2_lllS5_lllT3_llli, .Lfunc_end13-_ZL19rocblas_dgmm_kernelILi16ELi16ELb0EPK19rocblas_complex_numIdEPS1_EviiT2_lllS5_lllT3_llli
                                        ; -- End function
	.set _ZL19rocblas_dgmm_kernelILi16ELi16ELb0EPK19rocblas_complex_numIdEPS1_EviiT2_lllS5_lllT3_llli.num_vgpr, 30
	.set _ZL19rocblas_dgmm_kernelILi16ELi16ELb0EPK19rocblas_complex_numIdEPS1_EviiT2_lllS5_lllT3_llli.num_agpr, 0
	.set _ZL19rocblas_dgmm_kernelILi16ELi16ELb0EPK19rocblas_complex_numIdEPS1_EviiT2_lllS5_lllT3_llli.numbered_sgpr, 34
	.set _ZL19rocblas_dgmm_kernelILi16ELi16ELb0EPK19rocblas_complex_numIdEPS1_EviiT2_lllS5_lllT3_llli.num_named_barrier, 0
	.set _ZL19rocblas_dgmm_kernelILi16ELi16ELb0EPK19rocblas_complex_numIdEPS1_EviiT2_lllS5_lllT3_llli.private_seg_size, 0
	.set _ZL19rocblas_dgmm_kernelILi16ELi16ELb0EPK19rocblas_complex_numIdEPS1_EviiT2_lllS5_lllT3_llli.uses_vcc, 1
	.set _ZL19rocblas_dgmm_kernelILi16ELi16ELb0EPK19rocblas_complex_numIdEPS1_EviiT2_lllS5_lllT3_llli.uses_flat_scratch, 0
	.set _ZL19rocblas_dgmm_kernelILi16ELi16ELb0EPK19rocblas_complex_numIdEPS1_EviiT2_lllS5_lllT3_llli.has_dyn_sized_stack, 0
	.set _ZL19rocblas_dgmm_kernelILi16ELi16ELb0EPK19rocblas_complex_numIdEPS1_EviiT2_lllS5_lllT3_llli.has_recursion, 0
	.set _ZL19rocblas_dgmm_kernelILi16ELi16ELb0EPK19rocblas_complex_numIdEPS1_EviiT2_lllS5_lllT3_llli.has_indirect_call, 0
	.section	.AMDGPU.csdata,"",@progbits
; Kernel info:
; codeLenInByte = 524
; TotalNumSgprs: 36
; NumVgprs: 30
; ScratchSize: 0
; MemoryBound: 0
; FloatMode: 240
; IeeeMode: 1
; LDSByteSize: 0 bytes/workgroup (compile time only)
; SGPRBlocks: 0
; VGPRBlocks: 1
; NumSGPRsForWavesPerEU: 36
; NumVGPRsForWavesPerEU: 30
; NamedBarCnt: 0
; Occupancy: 16
; WaveLimiterHint : 0
; COMPUTE_PGM_RSRC2:SCRATCH_EN: 0
; COMPUTE_PGM_RSRC2:USER_SGPR: 2
; COMPUTE_PGM_RSRC2:TRAP_HANDLER: 0
; COMPUTE_PGM_RSRC2:TGID_X_EN: 1
; COMPUTE_PGM_RSRC2:TGID_Y_EN: 1
; COMPUTE_PGM_RSRC2:TGID_Z_EN: 1
; COMPUTE_PGM_RSRC2:TIDIG_COMP_CNT: 1
	.section	.text._ZL26rocblas_dgmm_gfx942_kernelILi32ELi32ELb1EPK19rocblas_complex_numIdEPS1_EviiT2_lllS5_lllT3_lll,"axG",@progbits,_ZL26rocblas_dgmm_gfx942_kernelILi32ELi32ELb1EPK19rocblas_complex_numIdEPS1_EviiT2_lllS5_lllT3_lll,comdat
	.globl	_ZL26rocblas_dgmm_gfx942_kernelILi32ELi32ELb1EPK19rocblas_complex_numIdEPS1_EviiT2_lllS5_lllT3_lll ; -- Begin function _ZL26rocblas_dgmm_gfx942_kernelILi32ELi32ELb1EPK19rocblas_complex_numIdEPS1_EviiT2_lllS5_lllT3_lll
	.p2align	8
	.type	_ZL26rocblas_dgmm_gfx942_kernelILi32ELi32ELb1EPK19rocblas_complex_numIdEPS1_EviiT2_lllS5_lllT3_lll,@function
_ZL26rocblas_dgmm_gfx942_kernelILi32ELi32ELb1EPK19rocblas_complex_numIdEPS1_EviiT2_lllS5_lllT3_lll: ; @_ZL26rocblas_dgmm_gfx942_kernelILi32ELi32ELb1EPK19rocblas_complex_numIdEPS1_EviiT2_lllS5_lllT3_lll
; %bb.0:
	s_endpgm
	.section	.rodata,"a",@progbits
	.p2align	6, 0x0
	.amdhsa_kernel _ZL26rocblas_dgmm_gfx942_kernelILi32ELi32ELb1EPK19rocblas_complex_numIdEPS1_EviiT2_lllS5_lllT3_lll
		.amdhsa_group_segment_fixed_size 0
		.amdhsa_private_segment_fixed_size 0
		.amdhsa_kernarg_size 104
		.amdhsa_user_sgpr_count 2
		.amdhsa_user_sgpr_dispatch_ptr 0
		.amdhsa_user_sgpr_queue_ptr 0
		.amdhsa_user_sgpr_kernarg_segment_ptr 1
		.amdhsa_user_sgpr_dispatch_id 0
		.amdhsa_user_sgpr_kernarg_preload_length 0
		.amdhsa_user_sgpr_kernarg_preload_offset 0
		.amdhsa_user_sgpr_private_segment_size 0
		.amdhsa_wavefront_size32 1
		.amdhsa_uses_dynamic_stack 0
		.amdhsa_enable_private_segment 0
		.amdhsa_system_sgpr_workgroup_id_x 1
		.amdhsa_system_sgpr_workgroup_id_y 0
		.amdhsa_system_sgpr_workgroup_id_z 0
		.amdhsa_system_sgpr_workgroup_info 0
		.amdhsa_system_vgpr_workitem_id 0
		.amdhsa_next_free_vgpr 1
		.amdhsa_next_free_sgpr 1
		.amdhsa_named_barrier_count 0
		.amdhsa_reserve_vcc 0
		.amdhsa_float_round_mode_32 0
		.amdhsa_float_round_mode_16_64 0
		.amdhsa_float_denorm_mode_32 3
		.amdhsa_float_denorm_mode_16_64 3
		.amdhsa_fp16_overflow 0
		.amdhsa_memory_ordered 1
		.amdhsa_forward_progress 1
		.amdhsa_inst_pref_size 1
		.amdhsa_round_robin_scheduling 0
		.amdhsa_exception_fp_ieee_invalid_op 0
		.amdhsa_exception_fp_denorm_src 0
		.amdhsa_exception_fp_ieee_div_zero 0
		.amdhsa_exception_fp_ieee_overflow 0
		.amdhsa_exception_fp_ieee_underflow 0
		.amdhsa_exception_fp_ieee_inexact 0
		.amdhsa_exception_int_div_zero 0
	.end_amdhsa_kernel
	.section	.text._ZL26rocblas_dgmm_gfx942_kernelILi32ELi32ELb1EPK19rocblas_complex_numIdEPS1_EviiT2_lllS5_lllT3_lll,"axG",@progbits,_ZL26rocblas_dgmm_gfx942_kernelILi32ELi32ELb1EPK19rocblas_complex_numIdEPS1_EviiT2_lllS5_lllT3_lll,comdat
.Lfunc_end14:
	.size	_ZL26rocblas_dgmm_gfx942_kernelILi32ELi32ELb1EPK19rocblas_complex_numIdEPS1_EviiT2_lllS5_lllT3_lll, .Lfunc_end14-_ZL26rocblas_dgmm_gfx942_kernelILi32ELi32ELb1EPK19rocblas_complex_numIdEPS1_EviiT2_lllS5_lllT3_lll
                                        ; -- End function
	.set _ZL26rocblas_dgmm_gfx942_kernelILi32ELi32ELb1EPK19rocblas_complex_numIdEPS1_EviiT2_lllS5_lllT3_lll.num_vgpr, 0
	.set _ZL26rocblas_dgmm_gfx942_kernelILi32ELi32ELb1EPK19rocblas_complex_numIdEPS1_EviiT2_lllS5_lllT3_lll.num_agpr, 0
	.set _ZL26rocblas_dgmm_gfx942_kernelILi32ELi32ELb1EPK19rocblas_complex_numIdEPS1_EviiT2_lllS5_lllT3_lll.numbered_sgpr, 0
	.set _ZL26rocblas_dgmm_gfx942_kernelILi32ELi32ELb1EPK19rocblas_complex_numIdEPS1_EviiT2_lllS5_lllT3_lll.num_named_barrier, 0
	.set _ZL26rocblas_dgmm_gfx942_kernelILi32ELi32ELb1EPK19rocblas_complex_numIdEPS1_EviiT2_lllS5_lllT3_lll.private_seg_size, 0
	.set _ZL26rocblas_dgmm_gfx942_kernelILi32ELi32ELb1EPK19rocblas_complex_numIdEPS1_EviiT2_lllS5_lllT3_lll.uses_vcc, 0
	.set _ZL26rocblas_dgmm_gfx942_kernelILi32ELi32ELb1EPK19rocblas_complex_numIdEPS1_EviiT2_lllS5_lllT3_lll.uses_flat_scratch, 0
	.set _ZL26rocblas_dgmm_gfx942_kernelILi32ELi32ELb1EPK19rocblas_complex_numIdEPS1_EviiT2_lllS5_lllT3_lll.has_dyn_sized_stack, 0
	.set _ZL26rocblas_dgmm_gfx942_kernelILi32ELi32ELb1EPK19rocblas_complex_numIdEPS1_EviiT2_lllS5_lllT3_lll.has_recursion, 0
	.set _ZL26rocblas_dgmm_gfx942_kernelILi32ELi32ELb1EPK19rocblas_complex_numIdEPS1_EviiT2_lllS5_lllT3_lll.has_indirect_call, 0
	.section	.AMDGPU.csdata,"",@progbits
; Kernel info:
; codeLenInByte = 4
; TotalNumSgprs: 0
; NumVgprs: 0
; ScratchSize: 0
; MemoryBound: 0
; FloatMode: 240
; IeeeMode: 1
; LDSByteSize: 0 bytes/workgroup (compile time only)
; SGPRBlocks: 0
; VGPRBlocks: 0
; NumSGPRsForWavesPerEU: 1
; NumVGPRsForWavesPerEU: 1
; NamedBarCnt: 0
; Occupancy: 16
; WaveLimiterHint : 0
; COMPUTE_PGM_RSRC2:SCRATCH_EN: 0
; COMPUTE_PGM_RSRC2:USER_SGPR: 2
; COMPUTE_PGM_RSRC2:TRAP_HANDLER: 0
; COMPUTE_PGM_RSRC2:TGID_X_EN: 1
; COMPUTE_PGM_RSRC2:TGID_Y_EN: 0
; COMPUTE_PGM_RSRC2:TGID_Z_EN: 0
; COMPUTE_PGM_RSRC2:TIDIG_COMP_CNT: 0
	.section	.text._ZL19rocblas_dgmm_kernelILi16ELi16ELb1EPK19rocblas_complex_numIdEPS1_EviiT2_lllS5_lllT3_llli,"axG",@progbits,_ZL19rocblas_dgmm_kernelILi16ELi16ELb1EPK19rocblas_complex_numIdEPS1_EviiT2_lllS5_lllT3_llli,comdat
	.globl	_ZL19rocblas_dgmm_kernelILi16ELi16ELb1EPK19rocblas_complex_numIdEPS1_EviiT2_lllS5_lllT3_llli ; -- Begin function _ZL19rocblas_dgmm_kernelILi16ELi16ELb1EPK19rocblas_complex_numIdEPS1_EviiT2_lllS5_lllT3_llli
	.p2align	8
	.type	_ZL19rocblas_dgmm_kernelILi16ELi16ELb1EPK19rocblas_complex_numIdEPS1_EviiT2_lllS5_lllT3_llli,@function
_ZL19rocblas_dgmm_kernelILi16ELi16ELb1EPK19rocblas_complex_numIdEPS1_EviiT2_lllS5_lllT3_llli: ; @_ZL19rocblas_dgmm_kernelILi16ELi16ELb1EPK19rocblas_complex_numIdEPS1_EviiT2_lllS5_lllT3_llli
; %bb.0:
	s_load_b32 s30, s[0:1], 0x68
	s_bfe_u32 s2, ttmp6, 0x40014
	s_lshr_b32 s3, ttmp7, 16
	s_add_co_i32 s2, s2, 1
	s_bfe_u32 s4, ttmp6, 0x40008
	s_mul_i32 s2, s3, s2
	s_getreg_b32 s31, hwreg(HW_REG_IB_STS2, 6, 4)
	s_add_co_i32 s4, s4, s2
	s_cmp_eq_u32 s31, 0
	s_mov_b32 s29, 0
	s_cselect_b32 s28, s3, s4
	s_wait_kmcnt 0x0
	s_cmp_ge_u32 s28, s30
	s_cbranch_scc1 .LBB15_6
; %bb.1:
	s_bfe_u32 s20, ttmp6, 0x40010
	s_bfe_u32 s35, ttmp6, 0x4000c
	s_and_b32 s33, ttmp7, 0xffff
	s_add_co_i32 s34, s20, 1
	s_add_co_i32 s35, s35, 1
	s_clause 0x2
	s_load_b64 s[2:3], s[0:1], 0x0
	s_load_b512 s[4:19], s[0:1], 0x8
	s_load_b256 s[20:27], s[0:1], 0x48
	s_mul_i32 s34, s33, s34
	s_bfe_u32 s36, ttmp6, 0x40004
	s_and_b32 s37, ttmp6, 15
	s_mul_i32 s35, ttmp9, s35
	s_add_co_i32 s36, s36, s34
	s_add_co_i32 s37, s37, s35
	v_and_b32_e32 v1, 0x3ff, v0
	s_cmp_eq_u32 s31, 0
	v_bfe_u32 v0, v0, 10, 10
	s_cselect_b32 s31, ttmp9, s37
	s_wait_xcnt 0x0
	s_add_nc_u64 s[0:1], s[0:1], 0x70
	v_lshl_add_u32 v2, s31, 4, v1
	s_cselect_b32 s31, s33, s36
	s_delay_alu instid0(SALU_CYCLE_1) | instskip(NEXT) | instid1(VALU_DEP_2)
	v_lshl_add_u32 v10, s31, 4, v0
	v_ashrrev_i32_e32 v3, 31, v2
	s_wait_kmcnt 0x0
	v_cmp_gt_i32_e32 vcc_lo, s2, v2
	s_lshl_b64 s[6:7], s[6:7], 4
	s_lshl_b64 s[22:23], s[22:23], 4
	s_add_nc_u64 s[4:5], s[4:5], s[6:7]
	v_lshlrev_b64_e32 v[4:5], 4, v[2:3]
	s_add_nc_u64 s[6:7], s[20:21], s[22:23]
	v_cmp_gt_i32_e64 s2, s3, v10
	s_delay_alu instid0(VALU_DEP_2)
	v_add_nc_u64_e32 v[0:1], s[4:5], v[4:5]
	v_add_nc_u64_e32 v[2:3], s[6:7], v[4:5]
	s_lshl_b64 s[4:5], s[14:15], 4
	s_and_b32 s2, vcc_lo, s2
	s_add_nc_u64 s[4:5], s[12:13], s[4:5]
	s_branch .LBB15_3
.LBB15_2:                               ;   in Loop: Header=BB15_3 Depth=1
	s_or_b32 exec_lo, exec_lo, s12
	s_add_co_i32 s28, s28, 0x10000
	s_delay_alu instid0(SALU_CYCLE_1)
	s_cmp_ge_u32 s28, s30
	s_cbranch_scc1 .LBB15_6
.LBB15_3:                               ; =>This Loop Header: Depth=1
                                        ;     Child Loop BB15_5 Depth 2
	s_and_saveexec_b32 s12, s2
	s_cbranch_execz .LBB15_2
; %bb.4:                                ;   in Loop: Header=BB15_3 Depth=1
	s_load_b32 s13, s[0:1], 0x4
	s_mul_u64 s[6:7], s[10:11], s[28:29]
	s_mul_u64 s[20:21], s[26:27], s[28:29]
	;; [unrolled: 1-line block ×3, first 2 shown]
	v_mov_b32_e32 v4, v10
	v_lshl_add_u64 v[6:7], s[6:7], 4, v[0:1]
	v_lshl_add_u64 v[8:9], s[20:21], 4, v[2:3]
	s_lshl_b64 s[14:15], s[14:15], 4
	s_delay_alu instid0(SALU_CYCLE_1)
	s_add_nc_u64 s[6:7], s[4:5], s[14:15]
	s_mov_b32 s14, 0
	s_wait_kmcnt 0x0
	s_lshl_b32 s13, s13, 4
.LBB15_5:                               ;   Parent Loop BB15_3 Depth=1
                                        ; =>  This Inner Loop Header: Depth=2
	v_ashrrev_i32_e32 v5, 31, v4
	s_delay_alu instid0(VALU_DEP_1) | instskip(SKIP_1) | instid1(VALU_DEP_2)
	v_mul_u64_e32 v[12:13], s[16:17], v[4:5]
	v_mul_u64_e32 v[14:15], s[8:9], v[4:5]
	v_lshl_add_u64 v[20:21], v[12:13], 4, s[6:7]
	s_delay_alu instid0(VALU_DEP_2)
	v_lshl_add_u64 v[22:23], v[14:15], 4, v[6:7]
	global_load_b128 v[12:15], v[20:21], off
	global_load_b128 v[16:19], v[22:23], off
	s_wait_loadcnt 0x0
	s_wait_xcnt 0x0
	v_mul_f64_e32 v[22:23], v[14:15], v[18:19]
	v_mul_f64_e32 v[20:21], v[12:13], v[18:19]
	v_mul_u64_e32 v[24:25], s[24:25], v[4:5]
	v_add_nc_u32_e32 v4, s13, v4
	s_delay_alu instid0(VALU_DEP_1)
	v_cmp_le_i32_e32 vcc_lo, s3, v4
	s_or_b32 s14, vcc_lo, s14
	v_fma_f64 v[18:19], v[12:13], v[16:17], -v[22:23]
	v_fmac_f64_e32 v[20:21], v[14:15], v[16:17]
	v_lshl_add_u64 v[12:13], v[24:25], 4, v[8:9]
	global_store_b128 v[12:13], v[18:21], off
	s_wait_xcnt 0x0
	s_and_not1_b32 exec_lo, exec_lo, s14
	s_cbranch_execnz .LBB15_5
	s_branch .LBB15_2
.LBB15_6:
	s_endpgm
	.section	.rodata,"a",@progbits
	.p2align	6, 0x0
	.amdhsa_kernel _ZL19rocblas_dgmm_kernelILi16ELi16ELb1EPK19rocblas_complex_numIdEPS1_EviiT2_lllS5_lllT3_llli
		.amdhsa_group_segment_fixed_size 0
		.amdhsa_private_segment_fixed_size 0
		.amdhsa_kernarg_size 368
		.amdhsa_user_sgpr_count 2
		.amdhsa_user_sgpr_dispatch_ptr 0
		.amdhsa_user_sgpr_queue_ptr 0
		.amdhsa_user_sgpr_kernarg_segment_ptr 1
		.amdhsa_user_sgpr_dispatch_id 0
		.amdhsa_user_sgpr_kernarg_preload_length 0
		.amdhsa_user_sgpr_kernarg_preload_offset 0
		.amdhsa_user_sgpr_private_segment_size 0
		.amdhsa_wavefront_size32 1
		.amdhsa_uses_dynamic_stack 0
		.amdhsa_enable_private_segment 0
		.amdhsa_system_sgpr_workgroup_id_x 1
		.amdhsa_system_sgpr_workgroup_id_y 1
		.amdhsa_system_sgpr_workgroup_id_z 1
		.amdhsa_system_sgpr_workgroup_info 0
		.amdhsa_system_vgpr_workitem_id 1
		.amdhsa_next_free_vgpr 26
		.amdhsa_next_free_sgpr 38
		.amdhsa_named_barrier_count 0
		.amdhsa_reserve_vcc 1
		.amdhsa_float_round_mode_32 0
		.amdhsa_float_round_mode_16_64 0
		.amdhsa_float_denorm_mode_32 3
		.amdhsa_float_denorm_mode_16_64 3
		.amdhsa_fp16_overflow 0
		.amdhsa_memory_ordered 1
		.amdhsa_forward_progress 1
		.amdhsa_inst_pref_size 5
		.amdhsa_round_robin_scheduling 0
		.amdhsa_exception_fp_ieee_invalid_op 0
		.amdhsa_exception_fp_denorm_src 0
		.amdhsa_exception_fp_ieee_div_zero 0
		.amdhsa_exception_fp_ieee_overflow 0
		.amdhsa_exception_fp_ieee_underflow 0
		.amdhsa_exception_fp_ieee_inexact 0
		.amdhsa_exception_int_div_zero 0
	.end_amdhsa_kernel
	.section	.text._ZL19rocblas_dgmm_kernelILi16ELi16ELb1EPK19rocblas_complex_numIdEPS1_EviiT2_lllS5_lllT3_llli,"axG",@progbits,_ZL19rocblas_dgmm_kernelILi16ELi16ELb1EPK19rocblas_complex_numIdEPS1_EviiT2_lllS5_lllT3_llli,comdat
.Lfunc_end15:
	.size	_ZL19rocblas_dgmm_kernelILi16ELi16ELb1EPK19rocblas_complex_numIdEPS1_EviiT2_lllS5_lllT3_llli, .Lfunc_end15-_ZL19rocblas_dgmm_kernelILi16ELi16ELb1EPK19rocblas_complex_numIdEPS1_EviiT2_lllS5_lllT3_llli
                                        ; -- End function
	.set _ZL19rocblas_dgmm_kernelILi16ELi16ELb1EPK19rocblas_complex_numIdEPS1_EviiT2_lllS5_lllT3_llli.num_vgpr, 26
	.set _ZL19rocblas_dgmm_kernelILi16ELi16ELb1EPK19rocblas_complex_numIdEPS1_EviiT2_lllS5_lllT3_llli.num_agpr, 0
	.set _ZL19rocblas_dgmm_kernelILi16ELi16ELb1EPK19rocblas_complex_numIdEPS1_EviiT2_lllS5_lllT3_llli.numbered_sgpr, 38
	.set _ZL19rocblas_dgmm_kernelILi16ELi16ELb1EPK19rocblas_complex_numIdEPS1_EviiT2_lllS5_lllT3_llli.num_named_barrier, 0
	.set _ZL19rocblas_dgmm_kernelILi16ELi16ELb1EPK19rocblas_complex_numIdEPS1_EviiT2_lllS5_lllT3_llli.private_seg_size, 0
	.set _ZL19rocblas_dgmm_kernelILi16ELi16ELb1EPK19rocblas_complex_numIdEPS1_EviiT2_lllS5_lllT3_llli.uses_vcc, 1
	.set _ZL19rocblas_dgmm_kernelILi16ELi16ELb1EPK19rocblas_complex_numIdEPS1_EviiT2_lllS5_lllT3_llli.uses_flat_scratch, 0
	.set _ZL19rocblas_dgmm_kernelILi16ELi16ELb1EPK19rocblas_complex_numIdEPS1_EviiT2_lllS5_lllT3_llli.has_dyn_sized_stack, 0
	.set _ZL19rocblas_dgmm_kernelILi16ELi16ELb1EPK19rocblas_complex_numIdEPS1_EviiT2_lllS5_lllT3_llli.has_recursion, 0
	.set _ZL19rocblas_dgmm_kernelILi16ELi16ELb1EPK19rocblas_complex_numIdEPS1_EviiT2_lllS5_lllT3_llli.has_indirect_call, 0
	.section	.AMDGPU.csdata,"",@progbits
; Kernel info:
; codeLenInByte = 528
; TotalNumSgprs: 40
; NumVgprs: 26
; ScratchSize: 0
; MemoryBound: 0
; FloatMode: 240
; IeeeMode: 1
; LDSByteSize: 0 bytes/workgroup (compile time only)
; SGPRBlocks: 0
; VGPRBlocks: 1
; NumSGPRsForWavesPerEU: 40
; NumVGPRsForWavesPerEU: 26
; NamedBarCnt: 0
; Occupancy: 16
; WaveLimiterHint : 0
; COMPUTE_PGM_RSRC2:SCRATCH_EN: 0
; COMPUTE_PGM_RSRC2:USER_SGPR: 2
; COMPUTE_PGM_RSRC2:TRAP_HANDLER: 0
; COMPUTE_PGM_RSRC2:TGID_X_EN: 1
; COMPUTE_PGM_RSRC2:TGID_Y_EN: 1
; COMPUTE_PGM_RSRC2:TGID_Z_EN: 1
; COMPUTE_PGM_RSRC2:TIDIG_COMP_CNT: 1
	.section	.text._ZL26rocblas_dgmm_gfx942_kernelILi32ELi32ELb0EPKPKfPKPfEviiT2_lllS7_lllT3_lll,"axG",@progbits,_ZL26rocblas_dgmm_gfx942_kernelILi32ELi32ELb0EPKPKfPKPfEviiT2_lllS7_lllT3_lll,comdat
	.globl	_ZL26rocblas_dgmm_gfx942_kernelILi32ELi32ELb0EPKPKfPKPfEviiT2_lllS7_lllT3_lll ; -- Begin function _ZL26rocblas_dgmm_gfx942_kernelILi32ELi32ELb0EPKPKfPKPfEviiT2_lllS7_lllT3_lll
	.p2align	8
	.type	_ZL26rocblas_dgmm_gfx942_kernelILi32ELi32ELb0EPKPKfPKPfEviiT2_lllS7_lllT3_lll,@function
_ZL26rocblas_dgmm_gfx942_kernelILi32ELi32ELb0EPKPKfPKPfEviiT2_lllS7_lllT3_lll: ; @_ZL26rocblas_dgmm_gfx942_kernelILi32ELi32ELb0EPKPKfPKPfEviiT2_lllS7_lllT3_lll
; %bb.0:
	s_endpgm
	.section	.rodata,"a",@progbits
	.p2align	6, 0x0
	.amdhsa_kernel _ZL26rocblas_dgmm_gfx942_kernelILi32ELi32ELb0EPKPKfPKPfEviiT2_lllS7_lllT3_lll
		.amdhsa_group_segment_fixed_size 0
		.amdhsa_private_segment_fixed_size 0
		.amdhsa_kernarg_size 104
		.amdhsa_user_sgpr_count 2
		.amdhsa_user_sgpr_dispatch_ptr 0
		.amdhsa_user_sgpr_queue_ptr 0
		.amdhsa_user_sgpr_kernarg_segment_ptr 1
		.amdhsa_user_sgpr_dispatch_id 0
		.amdhsa_user_sgpr_kernarg_preload_length 0
		.amdhsa_user_sgpr_kernarg_preload_offset 0
		.amdhsa_user_sgpr_private_segment_size 0
		.amdhsa_wavefront_size32 1
		.amdhsa_uses_dynamic_stack 0
		.amdhsa_enable_private_segment 0
		.amdhsa_system_sgpr_workgroup_id_x 1
		.amdhsa_system_sgpr_workgroup_id_y 0
		.amdhsa_system_sgpr_workgroup_id_z 0
		.amdhsa_system_sgpr_workgroup_info 0
		.amdhsa_system_vgpr_workitem_id 0
		.amdhsa_next_free_vgpr 1
		.amdhsa_next_free_sgpr 1
		.amdhsa_named_barrier_count 0
		.amdhsa_reserve_vcc 0
		.amdhsa_float_round_mode_32 0
		.amdhsa_float_round_mode_16_64 0
		.amdhsa_float_denorm_mode_32 3
		.amdhsa_float_denorm_mode_16_64 3
		.amdhsa_fp16_overflow 0
		.amdhsa_memory_ordered 1
		.amdhsa_forward_progress 1
		.amdhsa_inst_pref_size 1
		.amdhsa_round_robin_scheduling 0
		.amdhsa_exception_fp_ieee_invalid_op 0
		.amdhsa_exception_fp_denorm_src 0
		.amdhsa_exception_fp_ieee_div_zero 0
		.amdhsa_exception_fp_ieee_overflow 0
		.amdhsa_exception_fp_ieee_underflow 0
		.amdhsa_exception_fp_ieee_inexact 0
		.amdhsa_exception_int_div_zero 0
	.end_amdhsa_kernel
	.section	.text._ZL26rocblas_dgmm_gfx942_kernelILi32ELi32ELb0EPKPKfPKPfEviiT2_lllS7_lllT3_lll,"axG",@progbits,_ZL26rocblas_dgmm_gfx942_kernelILi32ELi32ELb0EPKPKfPKPfEviiT2_lllS7_lllT3_lll,comdat
.Lfunc_end16:
	.size	_ZL26rocblas_dgmm_gfx942_kernelILi32ELi32ELb0EPKPKfPKPfEviiT2_lllS7_lllT3_lll, .Lfunc_end16-_ZL26rocblas_dgmm_gfx942_kernelILi32ELi32ELb0EPKPKfPKPfEviiT2_lllS7_lllT3_lll
                                        ; -- End function
	.set _ZL26rocblas_dgmm_gfx942_kernelILi32ELi32ELb0EPKPKfPKPfEviiT2_lllS7_lllT3_lll.num_vgpr, 0
	.set _ZL26rocblas_dgmm_gfx942_kernelILi32ELi32ELb0EPKPKfPKPfEviiT2_lllS7_lllT3_lll.num_agpr, 0
	.set _ZL26rocblas_dgmm_gfx942_kernelILi32ELi32ELb0EPKPKfPKPfEviiT2_lllS7_lllT3_lll.numbered_sgpr, 0
	.set _ZL26rocblas_dgmm_gfx942_kernelILi32ELi32ELb0EPKPKfPKPfEviiT2_lllS7_lllT3_lll.num_named_barrier, 0
	.set _ZL26rocblas_dgmm_gfx942_kernelILi32ELi32ELb0EPKPKfPKPfEviiT2_lllS7_lllT3_lll.private_seg_size, 0
	.set _ZL26rocblas_dgmm_gfx942_kernelILi32ELi32ELb0EPKPKfPKPfEviiT2_lllS7_lllT3_lll.uses_vcc, 0
	.set _ZL26rocblas_dgmm_gfx942_kernelILi32ELi32ELb0EPKPKfPKPfEviiT2_lllS7_lllT3_lll.uses_flat_scratch, 0
	.set _ZL26rocblas_dgmm_gfx942_kernelILi32ELi32ELb0EPKPKfPKPfEviiT2_lllS7_lllT3_lll.has_dyn_sized_stack, 0
	.set _ZL26rocblas_dgmm_gfx942_kernelILi32ELi32ELb0EPKPKfPKPfEviiT2_lllS7_lllT3_lll.has_recursion, 0
	.set _ZL26rocblas_dgmm_gfx942_kernelILi32ELi32ELb0EPKPKfPKPfEviiT2_lllS7_lllT3_lll.has_indirect_call, 0
	.section	.AMDGPU.csdata,"",@progbits
; Kernel info:
; codeLenInByte = 4
; TotalNumSgprs: 0
; NumVgprs: 0
; ScratchSize: 0
; MemoryBound: 0
; FloatMode: 240
; IeeeMode: 1
; LDSByteSize: 0 bytes/workgroup (compile time only)
; SGPRBlocks: 0
; VGPRBlocks: 0
; NumSGPRsForWavesPerEU: 1
; NumVGPRsForWavesPerEU: 1
; NamedBarCnt: 0
; Occupancy: 16
; WaveLimiterHint : 0
; COMPUTE_PGM_RSRC2:SCRATCH_EN: 0
; COMPUTE_PGM_RSRC2:USER_SGPR: 2
; COMPUTE_PGM_RSRC2:TRAP_HANDLER: 0
; COMPUTE_PGM_RSRC2:TGID_X_EN: 1
; COMPUTE_PGM_RSRC2:TGID_Y_EN: 0
; COMPUTE_PGM_RSRC2:TGID_Z_EN: 0
; COMPUTE_PGM_RSRC2:TIDIG_COMP_CNT: 0
	.section	.text._ZL19rocblas_dgmm_kernelILi16ELi16ELb0EPKPKfPKPfEviiT2_lllS7_lllT3_llli,"axG",@progbits,_ZL19rocblas_dgmm_kernelILi16ELi16ELb0EPKPKfPKPfEviiT2_lllS7_lllT3_llli,comdat
	.globl	_ZL19rocblas_dgmm_kernelILi16ELi16ELb0EPKPKfPKPfEviiT2_lllS7_lllT3_llli ; -- Begin function _ZL19rocblas_dgmm_kernelILi16ELi16ELb0EPKPKfPKPfEviiT2_lllS7_lllT3_llli
	.p2align	8
	.type	_ZL19rocblas_dgmm_kernelILi16ELi16ELb0EPKPKfPKPfEviiT2_lllS7_lllT3_llli,@function
_ZL19rocblas_dgmm_kernelILi16ELi16ELb0EPKPKfPKPfEviiT2_lllS7_lllT3_llli: ; @_ZL19rocblas_dgmm_kernelILi16ELi16ELb0EPKPKfPKPfEviiT2_lllS7_lllT3_llli
; %bb.0:
	s_load_b32 s20, s[0:1], 0x68
	s_bfe_u32 s2, ttmp6, 0x40014
	s_lshr_b32 s3, ttmp7, 16
	s_add_co_i32 s2, s2, 1
	s_bfe_u32 s5, ttmp6, 0x40008
	s_mul_i32 s4, s3, s2
	s_getreg_b32 s2, hwreg(HW_REG_IB_STS2, 6, 4)
	s_add_co_i32 s5, s5, s4
	s_cmp_eq_u32 s2, 0
	s_cselect_b32 s21, s3, s5
	s_wait_kmcnt 0x0
	s_cmp_ge_u32 s21, s20
	s_cbranch_scc1 .LBB17_6
; %bb.1:
	s_bfe_u32 s3, ttmp6, 0x40010
	s_bfe_u32 s4, ttmp6, 0x4000c
	s_load_b64 s[8:9], s[0:1], 0x38
	s_and_b32 s22, ttmp7, 0xffff
	s_add_co_i32 s3, s3, 1
	s_add_co_i32 s4, s4, 1
	s_mul_i32 s3, s22, s3
	s_bfe_u32 s5, ttmp6, 0x40004
	s_and_b32 s6, ttmp6, 15
	s_mul_i32 s4, ttmp9, s4
	s_add_co_i32 s23, s5, s3
	s_add_co_i32 s6, s6, s4
	v_and_b32_e32 v1, 0x3ff, v0
	s_cmp_eq_u32 s2, 0
	s_load_b64 s[18:19], s[0:1], 0x58
	s_cselect_b32 s2, ttmp9, s6
	s_load_b128 s[4:7], s[0:1], 0x48
	v_lshl_add_u32 v4, s2, 4, v1
	v_bfe_u32 v0, v0, 10, 10
	s_cselect_b32 s22, s22, s23
	s_delay_alu instid0(VALU_DEP_2) | instskip(NEXT) | instid1(VALU_DEP_2)
	v_ashrrev_i32_e32 v5, 31, v4
	v_lshl_add_u32 v12, s22, 4, v0
	s_wait_kmcnt 0x0
	s_delay_alu instid0(VALU_DEP_2)
	v_mul_u64_e32 v[2:3], s[8:9], v[4:5]
	s_clause 0x3
	s_load_b64 s[2:3], s[0:1], 0x0
	s_load_b128 s[8:11], s[0:1], 0x8
	s_load_b128 s[12:15], s[0:1], 0x28
	s_load_b64 s[16:17], s[0:1], 0x18
	v_lshlrev_b64_e32 v[0:1], 2, v[4:5]
	s_wait_xcnt 0x0
	s_add_nc_u64 s[0:1], s[0:1], 0x70
	s_lshl_b64 s[6:7], s[6:7], 2
	s_wait_kmcnt 0x0
	v_cmp_gt_i32_e32 vcc_lo, s2, v4
	v_cmp_gt_i32_e64 s2, s3, v12
	s_lshl_b64 s[10:11], s[10:11], 2
	s_lshl_b64 s[14:15], s[14:15], 2
	s_and_b32 s2, vcc_lo, s2
	s_branch .LBB17_3
.LBB17_2:                               ;   in Loop: Header=BB17_3 Depth=1
	s_or_b32 exec_lo, exec_lo, s22
	s_add_co_i32 s21, s21, 0x10000
	s_delay_alu instid0(SALU_CYCLE_1)
	s_cmp_ge_u32 s21, s20
	s_cbranch_scc1 .LBB17_6
.LBB17_3:                               ; =>This Loop Header: Depth=1
                                        ;     Child Loop BB17_5 Depth 2
	s_and_saveexec_b32 s22, s2
	s_cbranch_execz .LBB17_2
; %bb.4:                                ;   in Loop: Header=BB17_3 Depth=1
	s_load_b64 s[24:25], s[8:9], s21 offset:0x0 scale_offset
	s_load_b64 s[26:27], s[12:13], s21 offset:0x0 scale_offset
	;; [unrolled: 1-line block ×3, first 2 shown]
	s_load_b32 s23, s[0:1], 0x4
	v_mov_b32_e32 v10, v12
	s_wait_kmcnt 0x0
	s_add_nc_u64 s[24:25], s[24:25], s[10:11]
	s_add_nc_u64 s[26:27], s[26:27], s[14:15]
	;; [unrolled: 1-line block ×3, first 2 shown]
	v_add_nc_u64_e32 v[4:5], s[24:25], v[0:1]
	v_add_nc_u64_e32 v[6:7], s[28:29], v[0:1]
	v_lshl_add_u64 v[8:9], v[2:3], 2, s[26:27]
	s_lshl_b32 s23, s23, 4
	s_mov_b32 s24, 0
.LBB17_5:                               ;   Parent Loop BB17_3 Depth=1
                                        ; =>  This Inner Loop Header: Depth=2
	v_ashrrev_i32_e32 v11, 31, v10
	s_delay_alu instid0(VALU_DEP_1) | instskip(NEXT) | instid1(VALU_DEP_1)
	v_mul_u64_e32 v[14:15], s[16:17], v[10:11]
	v_lshl_add_u64 v[14:15], v[14:15], 2, v[4:5]
	flat_load_b32 v13, v[8:9]
	flat_load_b32 v16, v[14:15]
	s_wait_xcnt 0x0
	v_mul_u64_e32 v[14:15], s[18:19], v[10:11]
	v_add_nc_u32_e32 v10, s23, v10
	s_delay_alu instid0(VALU_DEP_1) | instskip(SKIP_1) | instid1(VALU_DEP_3)
	v_cmp_le_i32_e32 vcc_lo, s3, v10
	s_or_b32 s24, vcc_lo, s24
	v_lshl_add_u64 v[14:15], v[14:15], 2, v[6:7]
	s_wait_loadcnt_dscnt 0x0
	v_mul_f32_e32 v11, v16, v13
	flat_store_b32 v[14:15], v11
	s_wait_xcnt 0x0
	s_and_not1_b32 exec_lo, exec_lo, s24
	s_cbranch_execnz .LBB17_5
	s_branch .LBB17_2
.LBB17_6:
	s_endpgm
	.section	.rodata,"a",@progbits
	.p2align	6, 0x0
	.amdhsa_kernel _ZL19rocblas_dgmm_kernelILi16ELi16ELb0EPKPKfPKPfEviiT2_lllS7_lllT3_llli
		.amdhsa_group_segment_fixed_size 0
		.amdhsa_private_segment_fixed_size 0
		.amdhsa_kernarg_size 368
		.amdhsa_user_sgpr_count 2
		.amdhsa_user_sgpr_dispatch_ptr 0
		.amdhsa_user_sgpr_queue_ptr 0
		.amdhsa_user_sgpr_kernarg_segment_ptr 1
		.amdhsa_user_sgpr_dispatch_id 0
		.amdhsa_user_sgpr_kernarg_preload_length 0
		.amdhsa_user_sgpr_kernarg_preload_offset 0
		.amdhsa_user_sgpr_private_segment_size 0
		.amdhsa_wavefront_size32 1
		.amdhsa_uses_dynamic_stack 0
		.amdhsa_enable_private_segment 0
		.amdhsa_system_sgpr_workgroup_id_x 1
		.amdhsa_system_sgpr_workgroup_id_y 1
		.amdhsa_system_sgpr_workgroup_id_z 1
		.amdhsa_system_sgpr_workgroup_info 0
		.amdhsa_system_vgpr_workitem_id 1
		.amdhsa_next_free_vgpr 17
		.amdhsa_next_free_sgpr 30
		.amdhsa_named_barrier_count 0
		.amdhsa_reserve_vcc 1
		.amdhsa_float_round_mode_32 0
		.amdhsa_float_round_mode_16_64 0
		.amdhsa_float_denorm_mode_32 3
		.amdhsa_float_denorm_mode_16_64 3
		.amdhsa_fp16_overflow 0
		.amdhsa_memory_ordered 1
		.amdhsa_forward_progress 1
		.amdhsa_inst_pref_size 5
		.amdhsa_round_robin_scheduling 0
		.amdhsa_exception_fp_ieee_invalid_op 0
		.amdhsa_exception_fp_denorm_src 0
		.amdhsa_exception_fp_ieee_div_zero 0
		.amdhsa_exception_fp_ieee_overflow 0
		.amdhsa_exception_fp_ieee_underflow 0
		.amdhsa_exception_fp_ieee_inexact 0
		.amdhsa_exception_int_div_zero 0
	.end_amdhsa_kernel
	.section	.text._ZL19rocblas_dgmm_kernelILi16ELi16ELb0EPKPKfPKPfEviiT2_lllS7_lllT3_llli,"axG",@progbits,_ZL19rocblas_dgmm_kernelILi16ELi16ELb0EPKPKfPKPfEviiT2_lllS7_lllT3_llli,comdat
.Lfunc_end17:
	.size	_ZL19rocblas_dgmm_kernelILi16ELi16ELb0EPKPKfPKPfEviiT2_lllS7_lllT3_llli, .Lfunc_end17-_ZL19rocblas_dgmm_kernelILi16ELi16ELb0EPKPKfPKPfEviiT2_lllS7_lllT3_llli
                                        ; -- End function
	.set _ZL19rocblas_dgmm_kernelILi16ELi16ELb0EPKPKfPKPfEviiT2_lllS7_lllT3_llli.num_vgpr, 17
	.set _ZL19rocblas_dgmm_kernelILi16ELi16ELb0EPKPKfPKPfEviiT2_lllS7_lllT3_llli.num_agpr, 0
	.set _ZL19rocblas_dgmm_kernelILi16ELi16ELb0EPKPKfPKPfEviiT2_lllS7_lllT3_llli.numbered_sgpr, 30
	.set _ZL19rocblas_dgmm_kernelILi16ELi16ELb0EPKPKfPKPfEviiT2_lllS7_lllT3_llli.num_named_barrier, 0
	.set _ZL19rocblas_dgmm_kernelILi16ELi16ELb0EPKPKfPKPfEviiT2_lllS7_lllT3_llli.private_seg_size, 0
	.set _ZL19rocblas_dgmm_kernelILi16ELi16ELb0EPKPKfPKPfEviiT2_lllS7_lllT3_llli.uses_vcc, 1
	.set _ZL19rocblas_dgmm_kernelILi16ELi16ELb0EPKPKfPKPfEviiT2_lllS7_lllT3_llli.uses_flat_scratch, 0
	.set _ZL19rocblas_dgmm_kernelILi16ELi16ELb0EPKPKfPKPfEviiT2_lllS7_lllT3_llli.has_dyn_sized_stack, 0
	.set _ZL19rocblas_dgmm_kernelILi16ELi16ELb0EPKPKfPKPfEviiT2_lllS7_lllT3_llli.has_recursion, 0
	.set _ZL19rocblas_dgmm_kernelILi16ELi16ELb0EPKPKfPKPfEviiT2_lllS7_lllT3_llli.has_indirect_call, 0
	.section	.AMDGPU.csdata,"",@progbits
; Kernel info:
; codeLenInByte = 524
; TotalNumSgprs: 32
; NumVgprs: 17
; ScratchSize: 0
; MemoryBound: 0
; FloatMode: 240
; IeeeMode: 1
; LDSByteSize: 0 bytes/workgroup (compile time only)
; SGPRBlocks: 0
; VGPRBlocks: 1
; NumSGPRsForWavesPerEU: 32
; NumVGPRsForWavesPerEU: 17
; NamedBarCnt: 0
; Occupancy: 16
; WaveLimiterHint : 1
; COMPUTE_PGM_RSRC2:SCRATCH_EN: 0
; COMPUTE_PGM_RSRC2:USER_SGPR: 2
; COMPUTE_PGM_RSRC2:TRAP_HANDLER: 0
; COMPUTE_PGM_RSRC2:TGID_X_EN: 1
; COMPUTE_PGM_RSRC2:TGID_Y_EN: 1
; COMPUTE_PGM_RSRC2:TGID_Z_EN: 1
; COMPUTE_PGM_RSRC2:TIDIG_COMP_CNT: 1
	.section	.text._ZL26rocblas_dgmm_gfx942_kernelILi32ELi32ELb1EPKPKfPKPfEviiT2_lllS7_lllT3_lll,"axG",@progbits,_ZL26rocblas_dgmm_gfx942_kernelILi32ELi32ELb1EPKPKfPKPfEviiT2_lllS7_lllT3_lll,comdat
	.globl	_ZL26rocblas_dgmm_gfx942_kernelILi32ELi32ELb1EPKPKfPKPfEviiT2_lllS7_lllT3_lll ; -- Begin function _ZL26rocblas_dgmm_gfx942_kernelILi32ELi32ELb1EPKPKfPKPfEviiT2_lllS7_lllT3_lll
	.p2align	8
	.type	_ZL26rocblas_dgmm_gfx942_kernelILi32ELi32ELb1EPKPKfPKPfEviiT2_lllS7_lllT3_lll,@function
_ZL26rocblas_dgmm_gfx942_kernelILi32ELi32ELb1EPKPKfPKPfEviiT2_lllS7_lllT3_lll: ; @_ZL26rocblas_dgmm_gfx942_kernelILi32ELi32ELb1EPKPKfPKPfEviiT2_lllS7_lllT3_lll
; %bb.0:
	s_endpgm
	.section	.rodata,"a",@progbits
	.p2align	6, 0x0
	.amdhsa_kernel _ZL26rocblas_dgmm_gfx942_kernelILi32ELi32ELb1EPKPKfPKPfEviiT2_lllS7_lllT3_lll
		.amdhsa_group_segment_fixed_size 0
		.amdhsa_private_segment_fixed_size 0
		.amdhsa_kernarg_size 104
		.amdhsa_user_sgpr_count 2
		.amdhsa_user_sgpr_dispatch_ptr 0
		.amdhsa_user_sgpr_queue_ptr 0
		.amdhsa_user_sgpr_kernarg_segment_ptr 1
		.amdhsa_user_sgpr_dispatch_id 0
		.amdhsa_user_sgpr_kernarg_preload_length 0
		.amdhsa_user_sgpr_kernarg_preload_offset 0
		.amdhsa_user_sgpr_private_segment_size 0
		.amdhsa_wavefront_size32 1
		.amdhsa_uses_dynamic_stack 0
		.amdhsa_enable_private_segment 0
		.amdhsa_system_sgpr_workgroup_id_x 1
		.amdhsa_system_sgpr_workgroup_id_y 0
		.amdhsa_system_sgpr_workgroup_id_z 0
		.amdhsa_system_sgpr_workgroup_info 0
		.amdhsa_system_vgpr_workitem_id 0
		.amdhsa_next_free_vgpr 1
		.amdhsa_next_free_sgpr 1
		.amdhsa_named_barrier_count 0
		.amdhsa_reserve_vcc 0
		.amdhsa_float_round_mode_32 0
		.amdhsa_float_round_mode_16_64 0
		.amdhsa_float_denorm_mode_32 3
		.amdhsa_float_denorm_mode_16_64 3
		.amdhsa_fp16_overflow 0
		.amdhsa_memory_ordered 1
		.amdhsa_forward_progress 1
		.amdhsa_inst_pref_size 1
		.amdhsa_round_robin_scheduling 0
		.amdhsa_exception_fp_ieee_invalid_op 0
		.amdhsa_exception_fp_denorm_src 0
		.amdhsa_exception_fp_ieee_div_zero 0
		.amdhsa_exception_fp_ieee_overflow 0
		.amdhsa_exception_fp_ieee_underflow 0
		.amdhsa_exception_fp_ieee_inexact 0
		.amdhsa_exception_int_div_zero 0
	.end_amdhsa_kernel
	.section	.text._ZL26rocblas_dgmm_gfx942_kernelILi32ELi32ELb1EPKPKfPKPfEviiT2_lllS7_lllT3_lll,"axG",@progbits,_ZL26rocblas_dgmm_gfx942_kernelILi32ELi32ELb1EPKPKfPKPfEviiT2_lllS7_lllT3_lll,comdat
.Lfunc_end18:
	.size	_ZL26rocblas_dgmm_gfx942_kernelILi32ELi32ELb1EPKPKfPKPfEviiT2_lllS7_lllT3_lll, .Lfunc_end18-_ZL26rocblas_dgmm_gfx942_kernelILi32ELi32ELb1EPKPKfPKPfEviiT2_lllS7_lllT3_lll
                                        ; -- End function
	.set _ZL26rocblas_dgmm_gfx942_kernelILi32ELi32ELb1EPKPKfPKPfEviiT2_lllS7_lllT3_lll.num_vgpr, 0
	.set _ZL26rocblas_dgmm_gfx942_kernelILi32ELi32ELb1EPKPKfPKPfEviiT2_lllS7_lllT3_lll.num_agpr, 0
	.set _ZL26rocblas_dgmm_gfx942_kernelILi32ELi32ELb1EPKPKfPKPfEviiT2_lllS7_lllT3_lll.numbered_sgpr, 0
	.set _ZL26rocblas_dgmm_gfx942_kernelILi32ELi32ELb1EPKPKfPKPfEviiT2_lllS7_lllT3_lll.num_named_barrier, 0
	.set _ZL26rocblas_dgmm_gfx942_kernelILi32ELi32ELb1EPKPKfPKPfEviiT2_lllS7_lllT3_lll.private_seg_size, 0
	.set _ZL26rocblas_dgmm_gfx942_kernelILi32ELi32ELb1EPKPKfPKPfEviiT2_lllS7_lllT3_lll.uses_vcc, 0
	.set _ZL26rocblas_dgmm_gfx942_kernelILi32ELi32ELb1EPKPKfPKPfEviiT2_lllS7_lllT3_lll.uses_flat_scratch, 0
	.set _ZL26rocblas_dgmm_gfx942_kernelILi32ELi32ELb1EPKPKfPKPfEviiT2_lllS7_lllT3_lll.has_dyn_sized_stack, 0
	.set _ZL26rocblas_dgmm_gfx942_kernelILi32ELi32ELb1EPKPKfPKPfEviiT2_lllS7_lllT3_lll.has_recursion, 0
	.set _ZL26rocblas_dgmm_gfx942_kernelILi32ELi32ELb1EPKPKfPKPfEviiT2_lllS7_lllT3_lll.has_indirect_call, 0
	.section	.AMDGPU.csdata,"",@progbits
; Kernel info:
; codeLenInByte = 4
; TotalNumSgprs: 0
; NumVgprs: 0
; ScratchSize: 0
; MemoryBound: 0
; FloatMode: 240
; IeeeMode: 1
; LDSByteSize: 0 bytes/workgroup (compile time only)
; SGPRBlocks: 0
; VGPRBlocks: 0
; NumSGPRsForWavesPerEU: 1
; NumVGPRsForWavesPerEU: 1
; NamedBarCnt: 0
; Occupancy: 16
; WaveLimiterHint : 0
; COMPUTE_PGM_RSRC2:SCRATCH_EN: 0
; COMPUTE_PGM_RSRC2:USER_SGPR: 2
; COMPUTE_PGM_RSRC2:TRAP_HANDLER: 0
; COMPUTE_PGM_RSRC2:TGID_X_EN: 1
; COMPUTE_PGM_RSRC2:TGID_Y_EN: 0
; COMPUTE_PGM_RSRC2:TGID_Z_EN: 0
; COMPUTE_PGM_RSRC2:TIDIG_COMP_CNT: 0
	.section	.text._ZL19rocblas_dgmm_kernelILi16ELi16ELb1EPKPKfPKPfEviiT2_lllS7_lllT3_llli,"axG",@progbits,_ZL19rocblas_dgmm_kernelILi16ELi16ELb1EPKPKfPKPfEviiT2_lllS7_lllT3_llli,comdat
	.globl	_ZL19rocblas_dgmm_kernelILi16ELi16ELb1EPKPKfPKPfEviiT2_lllS7_lllT3_llli ; -- Begin function _ZL19rocblas_dgmm_kernelILi16ELi16ELb1EPKPKfPKPfEviiT2_lllS7_lllT3_llli
	.p2align	8
	.type	_ZL19rocblas_dgmm_kernelILi16ELi16ELb1EPKPKfPKPfEviiT2_lllS7_lllT3_llli,@function
_ZL19rocblas_dgmm_kernelILi16ELi16ELb1EPKPKfPKPfEviiT2_lllS7_lllT3_llli: ; @_ZL19rocblas_dgmm_kernelILi16ELi16ELb1EPKPKfPKPfEviiT2_lllS7_lllT3_llli
; %bb.0:
	s_load_b32 s24, s[0:1], 0x68
	s_bfe_u32 s2, ttmp6, 0x40014
	s_lshr_b32 s3, ttmp7, 16
	s_add_co_i32 s2, s2, 1
	s_bfe_u32 s4, ttmp6, 0x40008
	s_mul_i32 s2, s3, s2
	s_getreg_b32 s12, hwreg(HW_REG_IB_STS2, 6, 4)
	s_add_co_i32 s4, s4, s2
	s_cmp_eq_u32 s12, 0
	s_cselect_b32 s25, s3, s4
	s_wait_kmcnt 0x0
	s_cmp_ge_u32 s25, s24
	s_cbranch_scc1 .LBB19_6
; %bb.1:
	s_bfe_u32 s8, ttmp6, 0x40010
	s_bfe_u32 s14, ttmp6, 0x4000c
	s_and_b32 s22, ttmp7, 0xffff
	s_add_co_i32 s13, s8, 1
	s_add_co_i32 s14, s14, 1
	s_clause 0x1
	s_load_b64 s[2:3], s[0:1], 0x0
	s_load_b128 s[4:7], s[0:1], 0x8
	s_mul_i32 s13, s22, s13
	s_bfe_u32 s15, ttmp6, 0x40004
	s_and_b32 s18, ttmp6, 15
	s_mul_i32 s14, ttmp9, s14
	s_add_co_i32 s23, s15, s13
	s_add_co_i32 s20, s18, s14
	s_clause 0x1
	s_load_b64 s[16:17], s[0:1], 0x18
	s_load_b128 s[8:11], s[0:1], 0x28
	s_cmp_eq_u32 s12, 0
	v_and_b32_e32 v1, 0x3ff, v0
	s_clause 0x1
	s_load_b64 s[18:19], s[0:1], 0x38
	s_load_b128 s[12:15], s[0:1], 0x48
	s_cselect_b32 s26, ttmp9, s20
	s_load_b64 s[20:21], s[0:1], 0x58
	v_bfe_u32 v2, v0, 10, 10
	v_lshl_add_u32 v0, s26, 4, v1
	s_cselect_b32 s22, s22, s23
	s_wait_xcnt 0x0
	s_add_nc_u64 s[0:1], s[0:1], 0x70
	v_lshl_add_u32 v8, s22, 4, v2
	v_ashrrev_i32_e32 v1, 31, v0
	s_wait_kmcnt 0x0
	v_cmp_gt_i32_e32 vcc_lo, s2, v0
	s_lshl_b64 s[6:7], s[6:7], 2
	v_cmp_gt_i32_e64 s2, s3, v8
	v_lshlrev_b64_e32 v[0:1], 2, v[0:1]
	s_lshl_b64 s[10:11], s[10:11], 2
	s_and_b32 s2, vcc_lo, s2
	s_lshl_b64 s[14:15], s[14:15], 2
	s_branch .LBB19_3
.LBB19_2:                               ;   in Loop: Header=BB19_3 Depth=1
	s_or_b32 exec_lo, exec_lo, s26
	s_add_co_i32 s25, s25, 0x10000
	s_delay_alu instid0(SALU_CYCLE_1)
	s_cmp_ge_u32 s25, s24
	s_cbranch_scc1 .LBB19_6
.LBB19_3:                               ; =>This Loop Header: Depth=1
                                        ;     Child Loop BB19_5 Depth 2
	s_and_saveexec_b32 s26, s2
	s_cbranch_execz .LBB19_2
; %bb.4:                                ;   in Loop: Header=BB19_3 Depth=1
	s_load_b64 s[22:23], s[4:5], s25 offset:0x0 scale_offset
	s_load_b64 s[28:29], s[12:13], s25 offset:0x0 scale_offset
	;; [unrolled: 1-line block ×3, first 2 shown]
	s_load_b32 s27, s[0:1], 0x4
	v_mov_b32_e32 v6, v8
	s_wait_kmcnt 0x0
	s_add_nc_u64 s[22:23], s[22:23], s[6:7]
	s_add_nc_u64 s[28:29], s[28:29], s[14:15]
	v_add_nc_u64_e32 v[2:3], s[22:23], v[0:1]
	v_add_nc_u64_e32 v[4:5], s[28:29], v[0:1]
	s_add_nc_u64 s[22:23], s[30:31], s[10:11]
	s_lshl_b32 s27, s27, 4
	s_mov_b32 s28, 0
.LBB19_5:                               ;   Parent Loop BB19_3 Depth=1
                                        ; =>  This Inner Loop Header: Depth=2
	v_ashrrev_i32_e32 v7, 31, v6
	s_delay_alu instid0(VALU_DEP_1) | instskip(SKIP_1) | instid1(VALU_DEP_2)
	v_mul_u64_e32 v[10:11], s[16:17], v[6:7]
	v_mul_u64_e32 v[12:13], s[18:19], v[6:7]
	v_lshl_add_u64 v[10:11], v[10:11], 2, v[2:3]
	s_delay_alu instid0(VALU_DEP_2)
	v_lshl_add_u64 v[12:13], v[12:13], 2, s[22:23]
	flat_load_b32 v9, v[10:11]
	flat_load_b32 v14, v[12:13]
	s_wait_xcnt 0x1
	v_mul_u64_e32 v[10:11], s[20:21], v[6:7]
	v_add_nc_u32_e32 v6, s27, v6
	s_delay_alu instid0(VALU_DEP_1) | instskip(SKIP_1) | instid1(VALU_DEP_3)
	v_cmp_le_i32_e32 vcc_lo, s3, v6
	s_or_b32 s28, vcc_lo, s28
	v_lshl_add_u64 v[10:11], v[10:11], 2, v[4:5]
	s_wait_loadcnt_dscnt 0x0
	v_mul_f32_e32 v7, v9, v14
	flat_store_b32 v[10:11], v7
	s_wait_xcnt 0x0
	s_and_not1_b32 exec_lo, exec_lo, s28
	s_cbranch_execnz .LBB19_5
	s_branch .LBB19_2
.LBB19_6:
	s_endpgm
	.section	.rodata,"a",@progbits
	.p2align	6, 0x0
	.amdhsa_kernel _ZL19rocblas_dgmm_kernelILi16ELi16ELb1EPKPKfPKPfEviiT2_lllS7_lllT3_llli
		.amdhsa_group_segment_fixed_size 0
		.amdhsa_private_segment_fixed_size 0
		.amdhsa_kernarg_size 368
		.amdhsa_user_sgpr_count 2
		.amdhsa_user_sgpr_dispatch_ptr 0
		.amdhsa_user_sgpr_queue_ptr 0
		.amdhsa_user_sgpr_kernarg_segment_ptr 1
		.amdhsa_user_sgpr_dispatch_id 0
		.amdhsa_user_sgpr_kernarg_preload_length 0
		.amdhsa_user_sgpr_kernarg_preload_offset 0
		.amdhsa_user_sgpr_private_segment_size 0
		.amdhsa_wavefront_size32 1
		.amdhsa_uses_dynamic_stack 0
		.amdhsa_enable_private_segment 0
		.amdhsa_system_sgpr_workgroup_id_x 1
		.amdhsa_system_sgpr_workgroup_id_y 1
		.amdhsa_system_sgpr_workgroup_id_z 1
		.amdhsa_system_sgpr_workgroup_info 0
		.amdhsa_system_vgpr_workitem_id 1
		.amdhsa_next_free_vgpr 15
		.amdhsa_next_free_sgpr 32
		.amdhsa_named_barrier_count 0
		.amdhsa_reserve_vcc 1
		.amdhsa_float_round_mode_32 0
		.amdhsa_float_round_mode_16_64 0
		.amdhsa_float_denorm_mode_32 3
		.amdhsa_float_denorm_mode_16_64 3
		.amdhsa_fp16_overflow 0
		.amdhsa_memory_ordered 1
		.amdhsa_forward_progress 1
		.amdhsa_inst_pref_size 5
		.amdhsa_round_robin_scheduling 0
		.amdhsa_exception_fp_ieee_invalid_op 0
		.amdhsa_exception_fp_denorm_src 0
		.amdhsa_exception_fp_ieee_div_zero 0
		.amdhsa_exception_fp_ieee_overflow 0
		.amdhsa_exception_fp_ieee_underflow 0
		.amdhsa_exception_fp_ieee_inexact 0
		.amdhsa_exception_int_div_zero 0
	.end_amdhsa_kernel
	.section	.text._ZL19rocblas_dgmm_kernelILi16ELi16ELb1EPKPKfPKPfEviiT2_lllS7_lllT3_llli,"axG",@progbits,_ZL19rocblas_dgmm_kernelILi16ELi16ELb1EPKPKfPKPfEviiT2_lllS7_lllT3_llli,comdat
.Lfunc_end19:
	.size	_ZL19rocblas_dgmm_kernelILi16ELi16ELb1EPKPKfPKPfEviiT2_lllS7_lllT3_llli, .Lfunc_end19-_ZL19rocblas_dgmm_kernelILi16ELi16ELb1EPKPKfPKPfEviiT2_lllS7_lllT3_llli
                                        ; -- End function
	.set _ZL19rocblas_dgmm_kernelILi16ELi16ELb1EPKPKfPKPfEviiT2_lllS7_lllT3_llli.num_vgpr, 15
	.set _ZL19rocblas_dgmm_kernelILi16ELi16ELb1EPKPKfPKPfEviiT2_lllS7_lllT3_llli.num_agpr, 0
	.set _ZL19rocblas_dgmm_kernelILi16ELi16ELb1EPKPKfPKPfEviiT2_lllS7_lllT3_llli.numbered_sgpr, 32
	.set _ZL19rocblas_dgmm_kernelILi16ELi16ELb1EPKPKfPKPfEviiT2_lllS7_lllT3_llli.num_named_barrier, 0
	.set _ZL19rocblas_dgmm_kernelILi16ELi16ELb1EPKPKfPKPfEviiT2_lllS7_lllT3_llli.private_seg_size, 0
	.set _ZL19rocblas_dgmm_kernelILi16ELi16ELb1EPKPKfPKPfEviiT2_lllS7_lllT3_llli.uses_vcc, 1
	.set _ZL19rocblas_dgmm_kernelILi16ELi16ELb1EPKPKfPKPfEviiT2_lllS7_lllT3_llli.uses_flat_scratch, 0
	.set _ZL19rocblas_dgmm_kernelILi16ELi16ELb1EPKPKfPKPfEviiT2_lllS7_lllT3_llli.has_dyn_sized_stack, 0
	.set _ZL19rocblas_dgmm_kernelILi16ELi16ELb1EPKPKfPKPfEviiT2_lllS7_lllT3_llli.has_recursion, 0
	.set _ZL19rocblas_dgmm_kernelILi16ELi16ELb1EPKPKfPKPfEviiT2_lllS7_lllT3_llli.has_indirect_call, 0
	.section	.AMDGPU.csdata,"",@progbits
; Kernel info:
; codeLenInByte = 524
; TotalNumSgprs: 34
; NumVgprs: 15
; ScratchSize: 0
; MemoryBound: 0
; FloatMode: 240
; IeeeMode: 1
; LDSByteSize: 0 bytes/workgroup (compile time only)
; SGPRBlocks: 0
; VGPRBlocks: 0
; NumSGPRsForWavesPerEU: 34
; NumVGPRsForWavesPerEU: 15
; NamedBarCnt: 0
; Occupancy: 16
; WaveLimiterHint : 1
; COMPUTE_PGM_RSRC2:SCRATCH_EN: 0
; COMPUTE_PGM_RSRC2:USER_SGPR: 2
; COMPUTE_PGM_RSRC2:TRAP_HANDLER: 0
; COMPUTE_PGM_RSRC2:TGID_X_EN: 1
; COMPUTE_PGM_RSRC2:TGID_Y_EN: 1
; COMPUTE_PGM_RSRC2:TGID_Z_EN: 1
; COMPUTE_PGM_RSRC2:TIDIG_COMP_CNT: 1
	.section	.text._ZL26rocblas_dgmm_gfx942_kernelILi32ELi32ELb0EPKPKdPKPdEviiT2_lllS7_lllT3_lll,"axG",@progbits,_ZL26rocblas_dgmm_gfx942_kernelILi32ELi32ELb0EPKPKdPKPdEviiT2_lllS7_lllT3_lll,comdat
	.globl	_ZL26rocblas_dgmm_gfx942_kernelILi32ELi32ELb0EPKPKdPKPdEviiT2_lllS7_lllT3_lll ; -- Begin function _ZL26rocblas_dgmm_gfx942_kernelILi32ELi32ELb0EPKPKdPKPdEviiT2_lllS7_lllT3_lll
	.p2align	8
	.type	_ZL26rocblas_dgmm_gfx942_kernelILi32ELi32ELb0EPKPKdPKPdEviiT2_lllS7_lllT3_lll,@function
_ZL26rocblas_dgmm_gfx942_kernelILi32ELi32ELb0EPKPKdPKPdEviiT2_lllS7_lllT3_lll: ; @_ZL26rocblas_dgmm_gfx942_kernelILi32ELi32ELb0EPKPKdPKPdEviiT2_lllS7_lllT3_lll
; %bb.0:
	s_endpgm
	.section	.rodata,"a",@progbits
	.p2align	6, 0x0
	.amdhsa_kernel _ZL26rocblas_dgmm_gfx942_kernelILi32ELi32ELb0EPKPKdPKPdEviiT2_lllS7_lllT3_lll
		.amdhsa_group_segment_fixed_size 0
		.amdhsa_private_segment_fixed_size 0
		.amdhsa_kernarg_size 104
		.amdhsa_user_sgpr_count 2
		.amdhsa_user_sgpr_dispatch_ptr 0
		.amdhsa_user_sgpr_queue_ptr 0
		.amdhsa_user_sgpr_kernarg_segment_ptr 1
		.amdhsa_user_sgpr_dispatch_id 0
		.amdhsa_user_sgpr_kernarg_preload_length 0
		.amdhsa_user_sgpr_kernarg_preload_offset 0
		.amdhsa_user_sgpr_private_segment_size 0
		.amdhsa_wavefront_size32 1
		.amdhsa_uses_dynamic_stack 0
		.amdhsa_enable_private_segment 0
		.amdhsa_system_sgpr_workgroup_id_x 1
		.amdhsa_system_sgpr_workgroup_id_y 0
		.amdhsa_system_sgpr_workgroup_id_z 0
		.amdhsa_system_sgpr_workgroup_info 0
		.amdhsa_system_vgpr_workitem_id 0
		.amdhsa_next_free_vgpr 1
		.amdhsa_next_free_sgpr 1
		.amdhsa_named_barrier_count 0
		.amdhsa_reserve_vcc 0
		.amdhsa_float_round_mode_32 0
		.amdhsa_float_round_mode_16_64 0
		.amdhsa_float_denorm_mode_32 3
		.amdhsa_float_denorm_mode_16_64 3
		.amdhsa_fp16_overflow 0
		.amdhsa_memory_ordered 1
		.amdhsa_forward_progress 1
		.amdhsa_inst_pref_size 1
		.amdhsa_round_robin_scheduling 0
		.amdhsa_exception_fp_ieee_invalid_op 0
		.amdhsa_exception_fp_denorm_src 0
		.amdhsa_exception_fp_ieee_div_zero 0
		.amdhsa_exception_fp_ieee_overflow 0
		.amdhsa_exception_fp_ieee_underflow 0
		.amdhsa_exception_fp_ieee_inexact 0
		.amdhsa_exception_int_div_zero 0
	.end_amdhsa_kernel
	.section	.text._ZL26rocblas_dgmm_gfx942_kernelILi32ELi32ELb0EPKPKdPKPdEviiT2_lllS7_lllT3_lll,"axG",@progbits,_ZL26rocblas_dgmm_gfx942_kernelILi32ELi32ELb0EPKPKdPKPdEviiT2_lllS7_lllT3_lll,comdat
.Lfunc_end20:
	.size	_ZL26rocblas_dgmm_gfx942_kernelILi32ELi32ELb0EPKPKdPKPdEviiT2_lllS7_lllT3_lll, .Lfunc_end20-_ZL26rocblas_dgmm_gfx942_kernelILi32ELi32ELb0EPKPKdPKPdEviiT2_lllS7_lllT3_lll
                                        ; -- End function
	.set _ZL26rocblas_dgmm_gfx942_kernelILi32ELi32ELb0EPKPKdPKPdEviiT2_lllS7_lllT3_lll.num_vgpr, 0
	.set _ZL26rocblas_dgmm_gfx942_kernelILi32ELi32ELb0EPKPKdPKPdEviiT2_lllS7_lllT3_lll.num_agpr, 0
	.set _ZL26rocblas_dgmm_gfx942_kernelILi32ELi32ELb0EPKPKdPKPdEviiT2_lllS7_lllT3_lll.numbered_sgpr, 0
	.set _ZL26rocblas_dgmm_gfx942_kernelILi32ELi32ELb0EPKPKdPKPdEviiT2_lllS7_lllT3_lll.num_named_barrier, 0
	.set _ZL26rocblas_dgmm_gfx942_kernelILi32ELi32ELb0EPKPKdPKPdEviiT2_lllS7_lllT3_lll.private_seg_size, 0
	.set _ZL26rocblas_dgmm_gfx942_kernelILi32ELi32ELb0EPKPKdPKPdEviiT2_lllS7_lllT3_lll.uses_vcc, 0
	.set _ZL26rocblas_dgmm_gfx942_kernelILi32ELi32ELb0EPKPKdPKPdEviiT2_lllS7_lllT3_lll.uses_flat_scratch, 0
	.set _ZL26rocblas_dgmm_gfx942_kernelILi32ELi32ELb0EPKPKdPKPdEviiT2_lllS7_lllT3_lll.has_dyn_sized_stack, 0
	.set _ZL26rocblas_dgmm_gfx942_kernelILi32ELi32ELb0EPKPKdPKPdEviiT2_lllS7_lllT3_lll.has_recursion, 0
	.set _ZL26rocblas_dgmm_gfx942_kernelILi32ELi32ELb0EPKPKdPKPdEviiT2_lllS7_lllT3_lll.has_indirect_call, 0
	.section	.AMDGPU.csdata,"",@progbits
; Kernel info:
; codeLenInByte = 4
; TotalNumSgprs: 0
; NumVgprs: 0
; ScratchSize: 0
; MemoryBound: 0
; FloatMode: 240
; IeeeMode: 1
; LDSByteSize: 0 bytes/workgroup (compile time only)
; SGPRBlocks: 0
; VGPRBlocks: 0
; NumSGPRsForWavesPerEU: 1
; NumVGPRsForWavesPerEU: 1
; NamedBarCnt: 0
; Occupancy: 16
; WaveLimiterHint : 0
; COMPUTE_PGM_RSRC2:SCRATCH_EN: 0
; COMPUTE_PGM_RSRC2:USER_SGPR: 2
; COMPUTE_PGM_RSRC2:TRAP_HANDLER: 0
; COMPUTE_PGM_RSRC2:TGID_X_EN: 1
; COMPUTE_PGM_RSRC2:TGID_Y_EN: 0
; COMPUTE_PGM_RSRC2:TGID_Z_EN: 0
; COMPUTE_PGM_RSRC2:TIDIG_COMP_CNT: 0
	.section	.text._ZL19rocblas_dgmm_kernelILi16ELi16ELb0EPKPKdPKPdEviiT2_lllS7_lllT3_llli,"axG",@progbits,_ZL19rocblas_dgmm_kernelILi16ELi16ELb0EPKPKdPKPdEviiT2_lllS7_lllT3_llli,comdat
	.globl	_ZL19rocblas_dgmm_kernelILi16ELi16ELb0EPKPKdPKPdEviiT2_lllS7_lllT3_llli ; -- Begin function _ZL19rocblas_dgmm_kernelILi16ELi16ELb0EPKPKdPKPdEviiT2_lllS7_lllT3_llli
	.p2align	8
	.type	_ZL19rocblas_dgmm_kernelILi16ELi16ELb0EPKPKdPKPdEviiT2_lllS7_lllT3_llli,@function
_ZL19rocblas_dgmm_kernelILi16ELi16ELb0EPKPKdPKPdEviiT2_lllS7_lllT3_llli: ; @_ZL19rocblas_dgmm_kernelILi16ELi16ELb0EPKPKdPKPdEviiT2_lllS7_lllT3_llli
; %bb.0:
	s_load_b32 s20, s[0:1], 0x68
	s_bfe_u32 s2, ttmp6, 0x40014
	s_lshr_b32 s3, ttmp7, 16
	s_add_co_i32 s2, s2, 1
	s_bfe_u32 s5, ttmp6, 0x40008
	s_mul_i32 s4, s3, s2
	s_getreg_b32 s2, hwreg(HW_REG_IB_STS2, 6, 4)
	s_add_co_i32 s5, s5, s4
	s_cmp_eq_u32 s2, 0
	s_cselect_b32 s21, s3, s5
	s_wait_kmcnt 0x0
	s_cmp_ge_u32 s21, s20
	s_cbranch_scc1 .LBB21_6
; %bb.1:
	s_bfe_u32 s3, ttmp6, 0x40010
	s_bfe_u32 s4, ttmp6, 0x4000c
	s_load_b64 s[8:9], s[0:1], 0x38
	s_and_b32 s22, ttmp7, 0xffff
	s_add_co_i32 s3, s3, 1
	s_add_co_i32 s4, s4, 1
	s_mul_i32 s3, s22, s3
	s_bfe_u32 s5, ttmp6, 0x40004
	s_and_b32 s6, ttmp6, 15
	s_mul_i32 s4, ttmp9, s4
	s_add_co_i32 s23, s5, s3
	s_add_co_i32 s6, s6, s4
	v_and_b32_e32 v1, 0x3ff, v0
	s_cmp_eq_u32 s2, 0
	s_load_b64 s[18:19], s[0:1], 0x58
	s_cselect_b32 s2, ttmp9, s6
	s_load_b128 s[4:7], s[0:1], 0x48
	v_lshl_add_u32 v4, s2, 4, v1
	v_bfe_u32 v0, v0, 10, 10
	s_cselect_b32 s22, s22, s23
	s_delay_alu instid0(VALU_DEP_2) | instskip(NEXT) | instid1(VALU_DEP_2)
	v_ashrrev_i32_e32 v5, 31, v4
	v_lshl_add_u32 v12, s22, 4, v0
	s_wait_kmcnt 0x0
	s_delay_alu instid0(VALU_DEP_2)
	v_mul_u64_e32 v[2:3], s[8:9], v[4:5]
	s_clause 0x3
	s_load_b64 s[2:3], s[0:1], 0x0
	s_load_b128 s[8:11], s[0:1], 0x8
	s_load_b128 s[12:15], s[0:1], 0x28
	s_load_b64 s[16:17], s[0:1], 0x18
	v_lshlrev_b64_e32 v[0:1], 3, v[4:5]
	s_wait_xcnt 0x0
	s_add_nc_u64 s[0:1], s[0:1], 0x70
	s_lshl_b64 s[6:7], s[6:7], 3
	s_wait_kmcnt 0x0
	v_cmp_gt_i32_e32 vcc_lo, s2, v4
	v_cmp_gt_i32_e64 s2, s3, v12
	s_lshl_b64 s[10:11], s[10:11], 3
	s_lshl_b64 s[14:15], s[14:15], 3
	s_and_b32 s2, vcc_lo, s2
	s_branch .LBB21_3
.LBB21_2:                               ;   in Loop: Header=BB21_3 Depth=1
	s_or_b32 exec_lo, exec_lo, s22
	s_add_co_i32 s21, s21, 0x10000
	s_delay_alu instid0(SALU_CYCLE_1)
	s_cmp_ge_u32 s21, s20
	s_cbranch_scc1 .LBB21_6
.LBB21_3:                               ; =>This Loop Header: Depth=1
                                        ;     Child Loop BB21_5 Depth 2
	s_and_saveexec_b32 s22, s2
	s_cbranch_execz .LBB21_2
; %bb.4:                                ;   in Loop: Header=BB21_3 Depth=1
	s_load_b64 s[24:25], s[8:9], s21 offset:0x0 scale_offset
	s_load_b64 s[26:27], s[12:13], s21 offset:0x0 scale_offset
	;; [unrolled: 1-line block ×3, first 2 shown]
	s_load_b32 s23, s[0:1], 0x4
	v_mov_b32_e32 v10, v12
	s_wait_kmcnt 0x0
	s_add_nc_u64 s[24:25], s[24:25], s[10:11]
	s_add_nc_u64 s[26:27], s[26:27], s[14:15]
	;; [unrolled: 1-line block ×3, first 2 shown]
	v_add_nc_u64_e32 v[4:5], s[24:25], v[0:1]
	v_add_nc_u64_e32 v[6:7], s[28:29], v[0:1]
	v_lshl_add_u64 v[8:9], v[2:3], 3, s[26:27]
	s_lshl_b32 s23, s23, 4
	s_mov_b32 s24, 0
.LBB21_5:                               ;   Parent Loop BB21_3 Depth=1
                                        ; =>  This Inner Loop Header: Depth=2
	v_ashrrev_i32_e32 v11, 31, v10
	s_delay_alu instid0(VALU_DEP_1) | instskip(NEXT) | instid1(VALU_DEP_1)
	v_mul_u64_e32 v[14:15], s[16:17], v[10:11]
	v_lshl_add_u64 v[14:15], v[14:15], 3, v[4:5]
	flat_load_b64 v[16:17], v[14:15]
	flat_load_b64 v[18:19], v[8:9]
	s_wait_xcnt 0x1
	v_mul_u64_e32 v[14:15], s[18:19], v[10:11]
	v_add_nc_u32_e32 v10, s23, v10
	s_delay_alu instid0(VALU_DEP_1) | instskip(SKIP_1) | instid1(VALU_DEP_3)
	v_cmp_le_i32_e32 vcc_lo, s3, v10
	s_or_b32 s24, vcc_lo, s24
	v_lshl_add_u64 v[14:15], v[14:15], 3, v[6:7]
	s_wait_loadcnt_dscnt 0x0
	v_mul_f64_e32 v[16:17], v[16:17], v[18:19]
	flat_store_b64 v[14:15], v[16:17]
	s_wait_xcnt 0x0
	s_and_not1_b32 exec_lo, exec_lo, s24
	s_cbranch_execnz .LBB21_5
	s_branch .LBB21_2
.LBB21_6:
	s_endpgm
	.section	.rodata,"a",@progbits
	.p2align	6, 0x0
	.amdhsa_kernel _ZL19rocblas_dgmm_kernelILi16ELi16ELb0EPKPKdPKPdEviiT2_lllS7_lllT3_llli
		.amdhsa_group_segment_fixed_size 0
		.amdhsa_private_segment_fixed_size 0
		.amdhsa_kernarg_size 368
		.amdhsa_user_sgpr_count 2
		.amdhsa_user_sgpr_dispatch_ptr 0
		.amdhsa_user_sgpr_queue_ptr 0
		.amdhsa_user_sgpr_kernarg_segment_ptr 1
		.amdhsa_user_sgpr_dispatch_id 0
		.amdhsa_user_sgpr_kernarg_preload_length 0
		.amdhsa_user_sgpr_kernarg_preload_offset 0
		.amdhsa_user_sgpr_private_segment_size 0
		.amdhsa_wavefront_size32 1
		.amdhsa_uses_dynamic_stack 0
		.amdhsa_enable_private_segment 0
		.amdhsa_system_sgpr_workgroup_id_x 1
		.amdhsa_system_sgpr_workgroup_id_y 1
		.amdhsa_system_sgpr_workgroup_id_z 1
		.amdhsa_system_sgpr_workgroup_info 0
		.amdhsa_system_vgpr_workitem_id 1
		.amdhsa_next_free_vgpr 20
		.amdhsa_next_free_sgpr 30
		.amdhsa_named_barrier_count 0
		.amdhsa_reserve_vcc 1
		.amdhsa_float_round_mode_32 0
		.amdhsa_float_round_mode_16_64 0
		.amdhsa_float_denorm_mode_32 3
		.amdhsa_float_denorm_mode_16_64 3
		.amdhsa_fp16_overflow 0
		.amdhsa_memory_ordered 1
		.amdhsa_forward_progress 1
		.amdhsa_inst_pref_size 5
		.amdhsa_round_robin_scheduling 0
		.amdhsa_exception_fp_ieee_invalid_op 0
		.amdhsa_exception_fp_denorm_src 0
		.amdhsa_exception_fp_ieee_div_zero 0
		.amdhsa_exception_fp_ieee_overflow 0
		.amdhsa_exception_fp_ieee_underflow 0
		.amdhsa_exception_fp_ieee_inexact 0
		.amdhsa_exception_int_div_zero 0
	.end_amdhsa_kernel
	.section	.text._ZL19rocblas_dgmm_kernelILi16ELi16ELb0EPKPKdPKPdEviiT2_lllS7_lllT3_llli,"axG",@progbits,_ZL19rocblas_dgmm_kernelILi16ELi16ELb0EPKPKdPKPdEviiT2_lllS7_lllT3_llli,comdat
.Lfunc_end21:
	.size	_ZL19rocblas_dgmm_kernelILi16ELi16ELb0EPKPKdPKPdEviiT2_lllS7_lllT3_llli, .Lfunc_end21-_ZL19rocblas_dgmm_kernelILi16ELi16ELb0EPKPKdPKPdEviiT2_lllS7_lllT3_llli
                                        ; -- End function
	.set _ZL19rocblas_dgmm_kernelILi16ELi16ELb0EPKPKdPKPdEviiT2_lllS7_lllT3_llli.num_vgpr, 20
	.set _ZL19rocblas_dgmm_kernelILi16ELi16ELb0EPKPKdPKPdEviiT2_lllS7_lllT3_llli.num_agpr, 0
	.set _ZL19rocblas_dgmm_kernelILi16ELi16ELb0EPKPKdPKPdEviiT2_lllS7_lllT3_llli.numbered_sgpr, 30
	.set _ZL19rocblas_dgmm_kernelILi16ELi16ELb0EPKPKdPKPdEviiT2_lllS7_lllT3_llli.num_named_barrier, 0
	.set _ZL19rocblas_dgmm_kernelILi16ELi16ELb0EPKPKdPKPdEviiT2_lllS7_lllT3_llli.private_seg_size, 0
	.set _ZL19rocblas_dgmm_kernelILi16ELi16ELb0EPKPKdPKPdEviiT2_lllS7_lllT3_llli.uses_vcc, 1
	.set _ZL19rocblas_dgmm_kernelILi16ELi16ELb0EPKPKdPKPdEviiT2_lllS7_lllT3_llli.uses_flat_scratch, 0
	.set _ZL19rocblas_dgmm_kernelILi16ELi16ELb0EPKPKdPKPdEviiT2_lllS7_lllT3_llli.has_dyn_sized_stack, 0
	.set _ZL19rocblas_dgmm_kernelILi16ELi16ELb0EPKPKdPKPdEviiT2_lllS7_lllT3_llli.has_recursion, 0
	.set _ZL19rocblas_dgmm_kernelILi16ELi16ELb0EPKPKdPKPdEviiT2_lllS7_lllT3_llli.has_indirect_call, 0
	.section	.AMDGPU.csdata,"",@progbits
; Kernel info:
; codeLenInByte = 524
; TotalNumSgprs: 32
; NumVgprs: 20
; ScratchSize: 0
; MemoryBound: 0
; FloatMode: 240
; IeeeMode: 1
; LDSByteSize: 0 bytes/workgroup (compile time only)
; SGPRBlocks: 0
; VGPRBlocks: 1
; NumSGPRsForWavesPerEU: 32
; NumVGPRsForWavesPerEU: 20
; NamedBarCnt: 0
; Occupancy: 16
; WaveLimiterHint : 1
; COMPUTE_PGM_RSRC2:SCRATCH_EN: 0
; COMPUTE_PGM_RSRC2:USER_SGPR: 2
; COMPUTE_PGM_RSRC2:TRAP_HANDLER: 0
; COMPUTE_PGM_RSRC2:TGID_X_EN: 1
; COMPUTE_PGM_RSRC2:TGID_Y_EN: 1
; COMPUTE_PGM_RSRC2:TGID_Z_EN: 1
; COMPUTE_PGM_RSRC2:TIDIG_COMP_CNT: 1
	.section	.text._ZL26rocblas_dgmm_gfx942_kernelILi32ELi32ELb1EPKPKdPKPdEviiT2_lllS7_lllT3_lll,"axG",@progbits,_ZL26rocblas_dgmm_gfx942_kernelILi32ELi32ELb1EPKPKdPKPdEviiT2_lllS7_lllT3_lll,comdat
	.globl	_ZL26rocblas_dgmm_gfx942_kernelILi32ELi32ELb1EPKPKdPKPdEviiT2_lllS7_lllT3_lll ; -- Begin function _ZL26rocblas_dgmm_gfx942_kernelILi32ELi32ELb1EPKPKdPKPdEviiT2_lllS7_lllT3_lll
	.p2align	8
	.type	_ZL26rocblas_dgmm_gfx942_kernelILi32ELi32ELb1EPKPKdPKPdEviiT2_lllS7_lllT3_lll,@function
_ZL26rocblas_dgmm_gfx942_kernelILi32ELi32ELb1EPKPKdPKPdEviiT2_lllS7_lllT3_lll: ; @_ZL26rocblas_dgmm_gfx942_kernelILi32ELi32ELb1EPKPKdPKPdEviiT2_lllS7_lllT3_lll
; %bb.0:
	s_endpgm
	.section	.rodata,"a",@progbits
	.p2align	6, 0x0
	.amdhsa_kernel _ZL26rocblas_dgmm_gfx942_kernelILi32ELi32ELb1EPKPKdPKPdEviiT2_lllS7_lllT3_lll
		.amdhsa_group_segment_fixed_size 0
		.amdhsa_private_segment_fixed_size 0
		.amdhsa_kernarg_size 104
		.amdhsa_user_sgpr_count 2
		.amdhsa_user_sgpr_dispatch_ptr 0
		.amdhsa_user_sgpr_queue_ptr 0
		.amdhsa_user_sgpr_kernarg_segment_ptr 1
		.amdhsa_user_sgpr_dispatch_id 0
		.amdhsa_user_sgpr_kernarg_preload_length 0
		.amdhsa_user_sgpr_kernarg_preload_offset 0
		.amdhsa_user_sgpr_private_segment_size 0
		.amdhsa_wavefront_size32 1
		.amdhsa_uses_dynamic_stack 0
		.amdhsa_enable_private_segment 0
		.amdhsa_system_sgpr_workgroup_id_x 1
		.amdhsa_system_sgpr_workgroup_id_y 0
		.amdhsa_system_sgpr_workgroup_id_z 0
		.amdhsa_system_sgpr_workgroup_info 0
		.amdhsa_system_vgpr_workitem_id 0
		.amdhsa_next_free_vgpr 1
		.amdhsa_next_free_sgpr 1
		.amdhsa_named_barrier_count 0
		.amdhsa_reserve_vcc 0
		.amdhsa_float_round_mode_32 0
		.amdhsa_float_round_mode_16_64 0
		.amdhsa_float_denorm_mode_32 3
		.amdhsa_float_denorm_mode_16_64 3
		.amdhsa_fp16_overflow 0
		.amdhsa_memory_ordered 1
		.amdhsa_forward_progress 1
		.amdhsa_inst_pref_size 1
		.amdhsa_round_robin_scheduling 0
		.amdhsa_exception_fp_ieee_invalid_op 0
		.amdhsa_exception_fp_denorm_src 0
		.amdhsa_exception_fp_ieee_div_zero 0
		.amdhsa_exception_fp_ieee_overflow 0
		.amdhsa_exception_fp_ieee_underflow 0
		.amdhsa_exception_fp_ieee_inexact 0
		.amdhsa_exception_int_div_zero 0
	.end_amdhsa_kernel
	.section	.text._ZL26rocblas_dgmm_gfx942_kernelILi32ELi32ELb1EPKPKdPKPdEviiT2_lllS7_lllT3_lll,"axG",@progbits,_ZL26rocblas_dgmm_gfx942_kernelILi32ELi32ELb1EPKPKdPKPdEviiT2_lllS7_lllT3_lll,comdat
.Lfunc_end22:
	.size	_ZL26rocblas_dgmm_gfx942_kernelILi32ELi32ELb1EPKPKdPKPdEviiT2_lllS7_lllT3_lll, .Lfunc_end22-_ZL26rocblas_dgmm_gfx942_kernelILi32ELi32ELb1EPKPKdPKPdEviiT2_lllS7_lllT3_lll
                                        ; -- End function
	.set _ZL26rocblas_dgmm_gfx942_kernelILi32ELi32ELb1EPKPKdPKPdEviiT2_lllS7_lllT3_lll.num_vgpr, 0
	.set _ZL26rocblas_dgmm_gfx942_kernelILi32ELi32ELb1EPKPKdPKPdEviiT2_lllS7_lllT3_lll.num_agpr, 0
	.set _ZL26rocblas_dgmm_gfx942_kernelILi32ELi32ELb1EPKPKdPKPdEviiT2_lllS7_lllT3_lll.numbered_sgpr, 0
	.set _ZL26rocblas_dgmm_gfx942_kernelILi32ELi32ELb1EPKPKdPKPdEviiT2_lllS7_lllT3_lll.num_named_barrier, 0
	.set _ZL26rocblas_dgmm_gfx942_kernelILi32ELi32ELb1EPKPKdPKPdEviiT2_lllS7_lllT3_lll.private_seg_size, 0
	.set _ZL26rocblas_dgmm_gfx942_kernelILi32ELi32ELb1EPKPKdPKPdEviiT2_lllS7_lllT3_lll.uses_vcc, 0
	.set _ZL26rocblas_dgmm_gfx942_kernelILi32ELi32ELb1EPKPKdPKPdEviiT2_lllS7_lllT3_lll.uses_flat_scratch, 0
	.set _ZL26rocblas_dgmm_gfx942_kernelILi32ELi32ELb1EPKPKdPKPdEviiT2_lllS7_lllT3_lll.has_dyn_sized_stack, 0
	.set _ZL26rocblas_dgmm_gfx942_kernelILi32ELi32ELb1EPKPKdPKPdEviiT2_lllS7_lllT3_lll.has_recursion, 0
	.set _ZL26rocblas_dgmm_gfx942_kernelILi32ELi32ELb1EPKPKdPKPdEviiT2_lllS7_lllT3_lll.has_indirect_call, 0
	.section	.AMDGPU.csdata,"",@progbits
; Kernel info:
; codeLenInByte = 4
; TotalNumSgprs: 0
; NumVgprs: 0
; ScratchSize: 0
; MemoryBound: 0
; FloatMode: 240
; IeeeMode: 1
; LDSByteSize: 0 bytes/workgroup (compile time only)
; SGPRBlocks: 0
; VGPRBlocks: 0
; NumSGPRsForWavesPerEU: 1
; NumVGPRsForWavesPerEU: 1
; NamedBarCnt: 0
; Occupancy: 16
; WaveLimiterHint : 0
; COMPUTE_PGM_RSRC2:SCRATCH_EN: 0
; COMPUTE_PGM_RSRC2:USER_SGPR: 2
; COMPUTE_PGM_RSRC2:TRAP_HANDLER: 0
; COMPUTE_PGM_RSRC2:TGID_X_EN: 1
; COMPUTE_PGM_RSRC2:TGID_Y_EN: 0
; COMPUTE_PGM_RSRC2:TGID_Z_EN: 0
; COMPUTE_PGM_RSRC2:TIDIG_COMP_CNT: 0
	.section	.text._ZL19rocblas_dgmm_kernelILi16ELi16ELb1EPKPKdPKPdEviiT2_lllS7_lllT3_llli,"axG",@progbits,_ZL19rocblas_dgmm_kernelILi16ELi16ELb1EPKPKdPKPdEviiT2_lllS7_lllT3_llli,comdat
	.globl	_ZL19rocblas_dgmm_kernelILi16ELi16ELb1EPKPKdPKPdEviiT2_lllS7_lllT3_llli ; -- Begin function _ZL19rocblas_dgmm_kernelILi16ELi16ELb1EPKPKdPKPdEviiT2_lllS7_lllT3_llli
	.p2align	8
	.type	_ZL19rocblas_dgmm_kernelILi16ELi16ELb1EPKPKdPKPdEviiT2_lllS7_lllT3_llli,@function
_ZL19rocblas_dgmm_kernelILi16ELi16ELb1EPKPKdPKPdEviiT2_lllS7_lllT3_llli: ; @_ZL19rocblas_dgmm_kernelILi16ELi16ELb1EPKPKdPKPdEviiT2_lllS7_lllT3_llli
; %bb.0:
	s_load_b32 s24, s[0:1], 0x68
	s_bfe_u32 s2, ttmp6, 0x40014
	s_lshr_b32 s3, ttmp7, 16
	s_add_co_i32 s2, s2, 1
	s_bfe_u32 s4, ttmp6, 0x40008
	s_mul_i32 s2, s3, s2
	s_getreg_b32 s12, hwreg(HW_REG_IB_STS2, 6, 4)
	s_add_co_i32 s4, s4, s2
	s_cmp_eq_u32 s12, 0
	s_cselect_b32 s25, s3, s4
	s_wait_kmcnt 0x0
	s_cmp_ge_u32 s25, s24
	s_cbranch_scc1 .LBB23_6
; %bb.1:
	s_bfe_u32 s8, ttmp6, 0x40010
	s_bfe_u32 s14, ttmp6, 0x4000c
	s_and_b32 s22, ttmp7, 0xffff
	s_add_co_i32 s13, s8, 1
	s_add_co_i32 s14, s14, 1
	s_clause 0x1
	s_load_b64 s[2:3], s[0:1], 0x0
	s_load_b128 s[4:7], s[0:1], 0x8
	s_mul_i32 s13, s22, s13
	s_bfe_u32 s15, ttmp6, 0x40004
	s_and_b32 s18, ttmp6, 15
	s_mul_i32 s14, ttmp9, s14
	s_add_co_i32 s23, s15, s13
	s_add_co_i32 s20, s18, s14
	s_clause 0x1
	s_load_b64 s[16:17], s[0:1], 0x18
	s_load_b128 s[8:11], s[0:1], 0x28
	s_cmp_eq_u32 s12, 0
	v_and_b32_e32 v1, 0x3ff, v0
	s_clause 0x1
	s_load_b64 s[18:19], s[0:1], 0x38
	s_load_b128 s[12:15], s[0:1], 0x48
	s_cselect_b32 s26, ttmp9, s20
	s_load_b64 s[20:21], s[0:1], 0x58
	v_bfe_u32 v2, v0, 10, 10
	v_lshl_add_u32 v0, s26, 4, v1
	s_cselect_b32 s22, s22, s23
	s_wait_xcnt 0x0
	s_add_nc_u64 s[0:1], s[0:1], 0x70
	v_lshl_add_u32 v8, s22, 4, v2
	v_ashrrev_i32_e32 v1, 31, v0
	s_wait_kmcnt 0x0
	v_cmp_gt_i32_e32 vcc_lo, s2, v0
	s_lshl_b64 s[6:7], s[6:7], 3
	v_cmp_gt_i32_e64 s2, s3, v8
	v_lshlrev_b64_e32 v[0:1], 3, v[0:1]
	s_lshl_b64 s[10:11], s[10:11], 3
	s_and_b32 s2, vcc_lo, s2
	s_lshl_b64 s[14:15], s[14:15], 3
	s_branch .LBB23_3
.LBB23_2:                               ;   in Loop: Header=BB23_3 Depth=1
	s_or_b32 exec_lo, exec_lo, s26
	s_add_co_i32 s25, s25, 0x10000
	s_delay_alu instid0(SALU_CYCLE_1)
	s_cmp_ge_u32 s25, s24
	s_cbranch_scc1 .LBB23_6
.LBB23_3:                               ; =>This Loop Header: Depth=1
                                        ;     Child Loop BB23_5 Depth 2
	s_and_saveexec_b32 s26, s2
	s_cbranch_execz .LBB23_2
; %bb.4:                                ;   in Loop: Header=BB23_3 Depth=1
	s_load_b64 s[22:23], s[4:5], s25 offset:0x0 scale_offset
	s_load_b64 s[28:29], s[12:13], s25 offset:0x0 scale_offset
	s_load_b64 s[30:31], s[8:9], s25 offset:0x0 scale_offset
	s_load_b32 s27, s[0:1], 0x4
	v_mov_b32_e32 v6, v8
	s_wait_kmcnt 0x0
	s_add_nc_u64 s[22:23], s[22:23], s[6:7]
	s_add_nc_u64 s[28:29], s[28:29], s[14:15]
	v_add_nc_u64_e32 v[2:3], s[22:23], v[0:1]
	v_add_nc_u64_e32 v[4:5], s[28:29], v[0:1]
	s_add_nc_u64 s[22:23], s[30:31], s[10:11]
	s_lshl_b32 s27, s27, 4
	s_mov_b32 s28, 0
.LBB23_5:                               ;   Parent Loop BB23_3 Depth=1
                                        ; =>  This Inner Loop Header: Depth=2
	v_ashrrev_i32_e32 v7, 31, v6
	s_delay_alu instid0(VALU_DEP_1) | instskip(SKIP_1) | instid1(VALU_DEP_2)
	v_mul_u64_e32 v[10:11], s[16:17], v[6:7]
	v_mul_u64_e32 v[12:13], s[18:19], v[6:7]
	v_lshl_add_u64 v[10:11], v[10:11], 3, v[2:3]
	s_delay_alu instid0(VALU_DEP_2)
	v_lshl_add_u64 v[12:13], v[12:13], 3, s[22:23]
	flat_load_b64 v[14:15], v[10:11]
	flat_load_b64 v[16:17], v[12:13]
	s_wait_loadcnt_dscnt 0x0
	s_wait_xcnt 0x0
	v_mul_f64_e32 v[12:13], v[14:15], v[16:17]
	v_mul_u64_e32 v[10:11], s[20:21], v[6:7]
	v_add_nc_u32_e32 v6, s27, v6
	s_delay_alu instid0(VALU_DEP_1) | instskip(SKIP_1) | instid1(VALU_DEP_3)
	v_cmp_le_i32_e32 vcc_lo, s3, v6
	s_or_b32 s28, vcc_lo, s28
	v_lshl_add_u64 v[10:11], v[10:11], 3, v[4:5]
	flat_store_b64 v[10:11], v[12:13]
	s_wait_xcnt 0x0
	s_and_not1_b32 exec_lo, exec_lo, s28
	s_cbranch_execnz .LBB23_5
	s_branch .LBB23_2
.LBB23_6:
	s_endpgm
	.section	.rodata,"a",@progbits
	.p2align	6, 0x0
	.amdhsa_kernel _ZL19rocblas_dgmm_kernelILi16ELi16ELb1EPKPKdPKPdEviiT2_lllS7_lllT3_llli
		.amdhsa_group_segment_fixed_size 0
		.amdhsa_private_segment_fixed_size 0
		.amdhsa_kernarg_size 368
		.amdhsa_user_sgpr_count 2
		.amdhsa_user_sgpr_dispatch_ptr 0
		.amdhsa_user_sgpr_queue_ptr 0
		.amdhsa_user_sgpr_kernarg_segment_ptr 1
		.amdhsa_user_sgpr_dispatch_id 0
		.amdhsa_user_sgpr_kernarg_preload_length 0
		.amdhsa_user_sgpr_kernarg_preload_offset 0
		.amdhsa_user_sgpr_private_segment_size 0
		.amdhsa_wavefront_size32 1
		.amdhsa_uses_dynamic_stack 0
		.amdhsa_enable_private_segment 0
		.amdhsa_system_sgpr_workgroup_id_x 1
		.amdhsa_system_sgpr_workgroup_id_y 1
		.amdhsa_system_sgpr_workgroup_id_z 1
		.amdhsa_system_sgpr_workgroup_info 0
		.amdhsa_system_vgpr_workitem_id 1
		.amdhsa_next_free_vgpr 18
		.amdhsa_next_free_sgpr 32
		.amdhsa_named_barrier_count 0
		.amdhsa_reserve_vcc 1
		.amdhsa_float_round_mode_32 0
		.amdhsa_float_round_mode_16_64 0
		.amdhsa_float_denorm_mode_32 3
		.amdhsa_float_denorm_mode_16_64 3
		.amdhsa_fp16_overflow 0
		.amdhsa_memory_ordered 1
		.amdhsa_forward_progress 1
		.amdhsa_inst_pref_size 5
		.amdhsa_round_robin_scheduling 0
		.amdhsa_exception_fp_ieee_invalid_op 0
		.amdhsa_exception_fp_denorm_src 0
		.amdhsa_exception_fp_ieee_div_zero 0
		.amdhsa_exception_fp_ieee_overflow 0
		.amdhsa_exception_fp_ieee_underflow 0
		.amdhsa_exception_fp_ieee_inexact 0
		.amdhsa_exception_int_div_zero 0
	.end_amdhsa_kernel
	.section	.text._ZL19rocblas_dgmm_kernelILi16ELi16ELb1EPKPKdPKPdEviiT2_lllS7_lllT3_llli,"axG",@progbits,_ZL19rocblas_dgmm_kernelILi16ELi16ELb1EPKPKdPKPdEviiT2_lllS7_lllT3_llli,comdat
.Lfunc_end23:
	.size	_ZL19rocblas_dgmm_kernelILi16ELi16ELb1EPKPKdPKPdEviiT2_lllS7_lllT3_llli, .Lfunc_end23-_ZL19rocblas_dgmm_kernelILi16ELi16ELb1EPKPKdPKPdEviiT2_lllS7_lllT3_llli
                                        ; -- End function
	.set _ZL19rocblas_dgmm_kernelILi16ELi16ELb1EPKPKdPKPdEviiT2_lllS7_lllT3_llli.num_vgpr, 18
	.set _ZL19rocblas_dgmm_kernelILi16ELi16ELb1EPKPKdPKPdEviiT2_lllS7_lllT3_llli.num_agpr, 0
	.set _ZL19rocblas_dgmm_kernelILi16ELi16ELb1EPKPKdPKPdEviiT2_lllS7_lllT3_llli.numbered_sgpr, 32
	.set _ZL19rocblas_dgmm_kernelILi16ELi16ELb1EPKPKdPKPdEviiT2_lllS7_lllT3_llli.num_named_barrier, 0
	.set _ZL19rocblas_dgmm_kernelILi16ELi16ELb1EPKPKdPKPdEviiT2_lllS7_lllT3_llli.private_seg_size, 0
	.set _ZL19rocblas_dgmm_kernelILi16ELi16ELb1EPKPKdPKPdEviiT2_lllS7_lllT3_llli.uses_vcc, 1
	.set _ZL19rocblas_dgmm_kernelILi16ELi16ELb1EPKPKdPKPdEviiT2_lllS7_lllT3_llli.uses_flat_scratch, 0
	.set _ZL19rocblas_dgmm_kernelILi16ELi16ELb1EPKPKdPKPdEviiT2_lllS7_lllT3_llli.has_dyn_sized_stack, 0
	.set _ZL19rocblas_dgmm_kernelILi16ELi16ELb1EPKPKdPKPdEviiT2_lllS7_lllT3_llli.has_recursion, 0
	.set _ZL19rocblas_dgmm_kernelILi16ELi16ELb1EPKPKdPKPdEviiT2_lllS7_lllT3_llli.has_indirect_call, 0
	.section	.AMDGPU.csdata,"",@progbits
; Kernel info:
; codeLenInByte = 524
; TotalNumSgprs: 34
; NumVgprs: 18
; ScratchSize: 0
; MemoryBound: 0
; FloatMode: 240
; IeeeMode: 1
; LDSByteSize: 0 bytes/workgroup (compile time only)
; SGPRBlocks: 0
; VGPRBlocks: 1
; NumSGPRsForWavesPerEU: 34
; NumVGPRsForWavesPerEU: 18
; NamedBarCnt: 0
; Occupancy: 16
; WaveLimiterHint : 1
; COMPUTE_PGM_RSRC2:SCRATCH_EN: 0
; COMPUTE_PGM_RSRC2:USER_SGPR: 2
; COMPUTE_PGM_RSRC2:TRAP_HANDLER: 0
; COMPUTE_PGM_RSRC2:TGID_X_EN: 1
; COMPUTE_PGM_RSRC2:TGID_Y_EN: 1
; COMPUTE_PGM_RSRC2:TGID_Z_EN: 1
; COMPUTE_PGM_RSRC2:TIDIG_COMP_CNT: 1
	.section	.text._ZL26rocblas_dgmm_gfx942_kernelILi32ELi32ELb0EPKPK19rocblas_complex_numIfEPKPS1_EviiT2_lllS9_lllT3_lll,"axG",@progbits,_ZL26rocblas_dgmm_gfx942_kernelILi32ELi32ELb0EPKPK19rocblas_complex_numIfEPKPS1_EviiT2_lllS9_lllT3_lll,comdat
	.globl	_ZL26rocblas_dgmm_gfx942_kernelILi32ELi32ELb0EPKPK19rocblas_complex_numIfEPKPS1_EviiT2_lllS9_lllT3_lll ; -- Begin function _ZL26rocblas_dgmm_gfx942_kernelILi32ELi32ELb0EPKPK19rocblas_complex_numIfEPKPS1_EviiT2_lllS9_lllT3_lll
	.p2align	8
	.type	_ZL26rocblas_dgmm_gfx942_kernelILi32ELi32ELb0EPKPK19rocblas_complex_numIfEPKPS1_EviiT2_lllS9_lllT3_lll,@function
_ZL26rocblas_dgmm_gfx942_kernelILi32ELi32ELb0EPKPK19rocblas_complex_numIfEPKPS1_EviiT2_lllS9_lllT3_lll: ; @_ZL26rocblas_dgmm_gfx942_kernelILi32ELi32ELb0EPKPK19rocblas_complex_numIfEPKPS1_EviiT2_lllS9_lllT3_lll
; %bb.0:
	s_endpgm
	.section	.rodata,"a",@progbits
	.p2align	6, 0x0
	.amdhsa_kernel _ZL26rocblas_dgmm_gfx942_kernelILi32ELi32ELb0EPKPK19rocblas_complex_numIfEPKPS1_EviiT2_lllS9_lllT3_lll
		.amdhsa_group_segment_fixed_size 0
		.amdhsa_private_segment_fixed_size 0
		.amdhsa_kernarg_size 104
		.amdhsa_user_sgpr_count 2
		.amdhsa_user_sgpr_dispatch_ptr 0
		.amdhsa_user_sgpr_queue_ptr 0
		.amdhsa_user_sgpr_kernarg_segment_ptr 1
		.amdhsa_user_sgpr_dispatch_id 0
		.amdhsa_user_sgpr_kernarg_preload_length 0
		.amdhsa_user_sgpr_kernarg_preload_offset 0
		.amdhsa_user_sgpr_private_segment_size 0
		.amdhsa_wavefront_size32 1
		.amdhsa_uses_dynamic_stack 0
		.amdhsa_enable_private_segment 0
		.amdhsa_system_sgpr_workgroup_id_x 1
		.amdhsa_system_sgpr_workgroup_id_y 0
		.amdhsa_system_sgpr_workgroup_id_z 0
		.amdhsa_system_sgpr_workgroup_info 0
		.amdhsa_system_vgpr_workitem_id 0
		.amdhsa_next_free_vgpr 1
		.amdhsa_next_free_sgpr 1
		.amdhsa_named_barrier_count 0
		.amdhsa_reserve_vcc 0
		.amdhsa_float_round_mode_32 0
		.amdhsa_float_round_mode_16_64 0
		.amdhsa_float_denorm_mode_32 3
		.amdhsa_float_denorm_mode_16_64 3
		.amdhsa_fp16_overflow 0
		.amdhsa_memory_ordered 1
		.amdhsa_forward_progress 1
		.amdhsa_inst_pref_size 1
		.amdhsa_round_robin_scheduling 0
		.amdhsa_exception_fp_ieee_invalid_op 0
		.amdhsa_exception_fp_denorm_src 0
		.amdhsa_exception_fp_ieee_div_zero 0
		.amdhsa_exception_fp_ieee_overflow 0
		.amdhsa_exception_fp_ieee_underflow 0
		.amdhsa_exception_fp_ieee_inexact 0
		.amdhsa_exception_int_div_zero 0
	.end_amdhsa_kernel
	.section	.text._ZL26rocblas_dgmm_gfx942_kernelILi32ELi32ELb0EPKPK19rocblas_complex_numIfEPKPS1_EviiT2_lllS9_lllT3_lll,"axG",@progbits,_ZL26rocblas_dgmm_gfx942_kernelILi32ELi32ELb0EPKPK19rocblas_complex_numIfEPKPS1_EviiT2_lllS9_lllT3_lll,comdat
.Lfunc_end24:
	.size	_ZL26rocblas_dgmm_gfx942_kernelILi32ELi32ELb0EPKPK19rocblas_complex_numIfEPKPS1_EviiT2_lllS9_lllT3_lll, .Lfunc_end24-_ZL26rocblas_dgmm_gfx942_kernelILi32ELi32ELb0EPKPK19rocblas_complex_numIfEPKPS1_EviiT2_lllS9_lllT3_lll
                                        ; -- End function
	.set _ZL26rocblas_dgmm_gfx942_kernelILi32ELi32ELb0EPKPK19rocblas_complex_numIfEPKPS1_EviiT2_lllS9_lllT3_lll.num_vgpr, 0
	.set _ZL26rocblas_dgmm_gfx942_kernelILi32ELi32ELb0EPKPK19rocblas_complex_numIfEPKPS1_EviiT2_lllS9_lllT3_lll.num_agpr, 0
	.set _ZL26rocblas_dgmm_gfx942_kernelILi32ELi32ELb0EPKPK19rocblas_complex_numIfEPKPS1_EviiT2_lllS9_lllT3_lll.numbered_sgpr, 0
	.set _ZL26rocblas_dgmm_gfx942_kernelILi32ELi32ELb0EPKPK19rocblas_complex_numIfEPKPS1_EviiT2_lllS9_lllT3_lll.num_named_barrier, 0
	.set _ZL26rocblas_dgmm_gfx942_kernelILi32ELi32ELb0EPKPK19rocblas_complex_numIfEPKPS1_EviiT2_lllS9_lllT3_lll.private_seg_size, 0
	.set _ZL26rocblas_dgmm_gfx942_kernelILi32ELi32ELb0EPKPK19rocblas_complex_numIfEPKPS1_EviiT2_lllS9_lllT3_lll.uses_vcc, 0
	.set _ZL26rocblas_dgmm_gfx942_kernelILi32ELi32ELb0EPKPK19rocblas_complex_numIfEPKPS1_EviiT2_lllS9_lllT3_lll.uses_flat_scratch, 0
	.set _ZL26rocblas_dgmm_gfx942_kernelILi32ELi32ELb0EPKPK19rocblas_complex_numIfEPKPS1_EviiT2_lllS9_lllT3_lll.has_dyn_sized_stack, 0
	.set _ZL26rocblas_dgmm_gfx942_kernelILi32ELi32ELb0EPKPK19rocblas_complex_numIfEPKPS1_EviiT2_lllS9_lllT3_lll.has_recursion, 0
	.set _ZL26rocblas_dgmm_gfx942_kernelILi32ELi32ELb0EPKPK19rocblas_complex_numIfEPKPS1_EviiT2_lllS9_lllT3_lll.has_indirect_call, 0
	.section	.AMDGPU.csdata,"",@progbits
; Kernel info:
; codeLenInByte = 4
; TotalNumSgprs: 0
; NumVgprs: 0
; ScratchSize: 0
; MemoryBound: 0
; FloatMode: 240
; IeeeMode: 1
; LDSByteSize: 0 bytes/workgroup (compile time only)
; SGPRBlocks: 0
; VGPRBlocks: 0
; NumSGPRsForWavesPerEU: 1
; NumVGPRsForWavesPerEU: 1
; NamedBarCnt: 0
; Occupancy: 16
; WaveLimiterHint : 0
; COMPUTE_PGM_RSRC2:SCRATCH_EN: 0
; COMPUTE_PGM_RSRC2:USER_SGPR: 2
; COMPUTE_PGM_RSRC2:TRAP_HANDLER: 0
; COMPUTE_PGM_RSRC2:TGID_X_EN: 1
; COMPUTE_PGM_RSRC2:TGID_Y_EN: 0
; COMPUTE_PGM_RSRC2:TGID_Z_EN: 0
; COMPUTE_PGM_RSRC2:TIDIG_COMP_CNT: 0
	.section	.text._ZL19rocblas_dgmm_kernelILi16ELi16ELb0EPKPK19rocblas_complex_numIfEPKPS1_EviiT2_lllS9_lllT3_llli,"axG",@progbits,_ZL19rocblas_dgmm_kernelILi16ELi16ELb0EPKPK19rocblas_complex_numIfEPKPS1_EviiT2_lllS9_lllT3_llli,comdat
	.globl	_ZL19rocblas_dgmm_kernelILi16ELi16ELb0EPKPK19rocblas_complex_numIfEPKPS1_EviiT2_lllS9_lllT3_llli ; -- Begin function _ZL19rocblas_dgmm_kernelILi16ELi16ELb0EPKPK19rocblas_complex_numIfEPKPS1_EviiT2_lllS9_lllT3_llli
	.p2align	8
	.type	_ZL19rocblas_dgmm_kernelILi16ELi16ELb0EPKPK19rocblas_complex_numIfEPKPS1_EviiT2_lllS9_lllT3_llli,@function
_ZL19rocblas_dgmm_kernelILi16ELi16ELb0EPKPK19rocblas_complex_numIfEPKPS1_EviiT2_lllS9_lllT3_llli: ; @_ZL19rocblas_dgmm_kernelILi16ELi16ELb0EPKPK19rocblas_complex_numIfEPKPS1_EviiT2_lllS9_lllT3_llli
; %bb.0:
	s_load_b32 s20, s[0:1], 0x68
	s_bfe_u32 s2, ttmp6, 0x40014
	s_lshr_b32 s3, ttmp7, 16
	s_add_co_i32 s2, s2, 1
	s_bfe_u32 s5, ttmp6, 0x40008
	s_mul_i32 s4, s3, s2
	s_getreg_b32 s2, hwreg(HW_REG_IB_STS2, 6, 4)
	s_add_co_i32 s5, s5, s4
	s_cmp_eq_u32 s2, 0
	s_cselect_b32 s21, s3, s5
	s_wait_kmcnt 0x0
	s_cmp_ge_u32 s21, s20
	s_cbranch_scc1 .LBB25_6
; %bb.1:
	s_bfe_u32 s3, ttmp6, 0x40010
	s_bfe_u32 s4, ttmp6, 0x4000c
	s_load_b64 s[8:9], s[0:1], 0x38
	s_and_b32 s22, ttmp7, 0xffff
	s_add_co_i32 s3, s3, 1
	s_add_co_i32 s4, s4, 1
	s_mul_i32 s3, s22, s3
	s_bfe_u32 s5, ttmp6, 0x40004
	s_and_b32 s6, ttmp6, 15
	s_mul_i32 s4, ttmp9, s4
	s_add_co_i32 s23, s5, s3
	s_add_co_i32 s6, s6, s4
	v_and_b32_e32 v1, 0x3ff, v0
	s_cmp_eq_u32 s2, 0
	s_load_b64 s[18:19], s[0:1], 0x58
	s_cselect_b32 s2, ttmp9, s6
	s_load_b128 s[4:7], s[0:1], 0x48
	v_lshl_add_u32 v4, s2, 4, v1
	v_bfe_u32 v0, v0, 10, 10
	s_cselect_b32 s22, s22, s23
	s_delay_alu instid0(VALU_DEP_2) | instskip(NEXT) | instid1(VALU_DEP_2)
	v_ashrrev_i32_e32 v5, 31, v4
	v_lshl_add_u32 v12, s22, 4, v0
	s_wait_kmcnt 0x0
	s_delay_alu instid0(VALU_DEP_2)
	v_mul_u64_e32 v[2:3], s[8:9], v[4:5]
	s_clause 0x3
	s_load_b64 s[2:3], s[0:1], 0x0
	s_load_b128 s[8:11], s[0:1], 0x8
	s_load_b128 s[12:15], s[0:1], 0x28
	s_load_b64 s[16:17], s[0:1], 0x18
	v_lshlrev_b64_e32 v[0:1], 3, v[4:5]
	s_wait_xcnt 0x0
	s_add_nc_u64 s[0:1], s[0:1], 0x70
	s_lshl_b64 s[6:7], s[6:7], 3
	s_wait_kmcnt 0x0
	v_cmp_gt_i32_e32 vcc_lo, s2, v4
	v_cmp_gt_i32_e64 s2, s3, v12
	s_lshl_b64 s[10:11], s[10:11], 3
	s_lshl_b64 s[14:15], s[14:15], 3
	s_and_b32 s2, vcc_lo, s2
	s_branch .LBB25_3
.LBB25_2:                               ;   in Loop: Header=BB25_3 Depth=1
	s_or_b32 exec_lo, exec_lo, s22
	s_add_co_i32 s21, s21, 0x10000
	s_delay_alu instid0(SALU_CYCLE_1)
	s_cmp_ge_u32 s21, s20
	s_cbranch_scc1 .LBB25_6
.LBB25_3:                               ; =>This Loop Header: Depth=1
                                        ;     Child Loop BB25_5 Depth 2
	s_and_saveexec_b32 s22, s2
	s_cbranch_execz .LBB25_2
; %bb.4:                                ;   in Loop: Header=BB25_3 Depth=1
	s_load_b64 s[24:25], s[8:9], s21 offset:0x0 scale_offset
	s_load_b64 s[26:27], s[12:13], s21 offset:0x0 scale_offset
	s_load_b64 s[28:29], s[4:5], s21 offset:0x0 scale_offset
	s_load_b32 s23, s[0:1], 0x4
	v_mov_b32_e32 v10, v12
	s_wait_kmcnt 0x0
	s_add_nc_u64 s[24:25], s[24:25], s[10:11]
	s_add_nc_u64 s[26:27], s[26:27], s[14:15]
	;; [unrolled: 1-line block ×3, first 2 shown]
	v_add_nc_u64_e32 v[4:5], s[24:25], v[0:1]
	v_add_nc_u64_e32 v[6:7], s[28:29], v[0:1]
	v_lshl_add_u64 v[8:9], v[2:3], 3, s[26:27]
	s_lshl_b32 s23, s23, 4
	s_mov_b32 s24, 0
.LBB25_5:                               ;   Parent Loop BB25_3 Depth=1
                                        ; =>  This Inner Loop Header: Depth=2
	v_ashrrev_i32_e32 v11, 31, v10
	s_delay_alu instid0(VALU_DEP_1) | instskip(NEXT) | instid1(VALU_DEP_1)
	v_mul_u64_e32 v[14:15], s[16:17], v[10:11]
	v_lshl_add_u64 v[14:15], v[14:15], 3, v[4:5]
	flat_load_b64 v[16:17], v[14:15]
	flat_load_b64 v[18:19], v[8:9]
	s_wait_xcnt 0x1
	v_mul_u64_e32 v[14:15], s[18:19], v[10:11]
	v_add_nc_u32_e32 v10, s23, v10
	s_delay_alu instid0(VALU_DEP_1) | instskip(SKIP_1) | instid1(VALU_DEP_3)
	v_cmp_le_i32_e32 vcc_lo, s3, v10
	s_or_b32 s24, vcc_lo, s24
	v_lshl_add_u64 v[14:15], v[14:15], 3, v[6:7]
	s_wait_loadcnt_dscnt 0x0
	v_pk_mul_f32 v[20:21], v[18:19], v[16:17] op_sel:[1,1] op_sel_hi:[0,1]
	s_delay_alu instid0(VALU_DEP_1) | instskip(SKIP_1) | instid1(VALU_DEP_2)
	v_pk_fma_f32 v[22:23], v[18:19], v[16:17], v[20:21] op_sel_hi:[1,0,1]
	v_pk_fma_f32 v[16:17], v[18:19], v[16:17], v[20:21] neg_lo:[0,0,1] neg_hi:[0,0,1]
	v_mov_b32_e32 v17, v23
	flat_store_b64 v[14:15], v[16:17]
	s_wait_xcnt 0x0
	s_and_not1_b32 exec_lo, exec_lo, s24
	s_cbranch_execnz .LBB25_5
	s_branch .LBB25_2
.LBB25_6:
	s_endpgm
	.section	.rodata,"a",@progbits
	.p2align	6, 0x0
	.amdhsa_kernel _ZL19rocblas_dgmm_kernelILi16ELi16ELb0EPKPK19rocblas_complex_numIfEPKPS1_EviiT2_lllS9_lllT3_llli
		.amdhsa_group_segment_fixed_size 0
		.amdhsa_private_segment_fixed_size 0
		.amdhsa_kernarg_size 368
		.amdhsa_user_sgpr_count 2
		.amdhsa_user_sgpr_dispatch_ptr 0
		.amdhsa_user_sgpr_queue_ptr 0
		.amdhsa_user_sgpr_kernarg_segment_ptr 1
		.amdhsa_user_sgpr_dispatch_id 0
		.amdhsa_user_sgpr_kernarg_preload_length 0
		.amdhsa_user_sgpr_kernarg_preload_offset 0
		.amdhsa_user_sgpr_private_segment_size 0
		.amdhsa_wavefront_size32 1
		.amdhsa_uses_dynamic_stack 0
		.amdhsa_enable_private_segment 0
		.amdhsa_system_sgpr_workgroup_id_x 1
		.amdhsa_system_sgpr_workgroup_id_y 1
		.amdhsa_system_sgpr_workgroup_id_z 1
		.amdhsa_system_sgpr_workgroup_info 0
		.amdhsa_system_vgpr_workitem_id 1
		.amdhsa_next_free_vgpr 24
		.amdhsa_next_free_sgpr 30
		.amdhsa_named_barrier_count 0
		.amdhsa_reserve_vcc 1
		.amdhsa_float_round_mode_32 0
		.amdhsa_float_round_mode_16_64 0
		.amdhsa_float_denorm_mode_32 3
		.amdhsa_float_denorm_mode_16_64 3
		.amdhsa_fp16_overflow 0
		.amdhsa_memory_ordered 1
		.amdhsa_forward_progress 1
		.amdhsa_inst_pref_size 5
		.amdhsa_round_robin_scheduling 0
		.amdhsa_exception_fp_ieee_invalid_op 0
		.amdhsa_exception_fp_denorm_src 0
		.amdhsa_exception_fp_ieee_div_zero 0
		.amdhsa_exception_fp_ieee_overflow 0
		.amdhsa_exception_fp_ieee_underflow 0
		.amdhsa_exception_fp_ieee_inexact 0
		.amdhsa_exception_int_div_zero 0
	.end_amdhsa_kernel
	.section	.text._ZL19rocblas_dgmm_kernelILi16ELi16ELb0EPKPK19rocblas_complex_numIfEPKPS1_EviiT2_lllS9_lllT3_llli,"axG",@progbits,_ZL19rocblas_dgmm_kernelILi16ELi16ELb0EPKPK19rocblas_complex_numIfEPKPS1_EviiT2_lllS9_lllT3_llli,comdat
.Lfunc_end25:
	.size	_ZL19rocblas_dgmm_kernelILi16ELi16ELb0EPKPK19rocblas_complex_numIfEPKPS1_EviiT2_lllS9_lllT3_llli, .Lfunc_end25-_ZL19rocblas_dgmm_kernelILi16ELi16ELb0EPKPK19rocblas_complex_numIfEPKPS1_EviiT2_lllS9_lllT3_llli
                                        ; -- End function
	.set _ZL19rocblas_dgmm_kernelILi16ELi16ELb0EPKPK19rocblas_complex_numIfEPKPS1_EviiT2_lllS9_lllT3_llli.num_vgpr, 24
	.set _ZL19rocblas_dgmm_kernelILi16ELi16ELb0EPKPK19rocblas_complex_numIfEPKPS1_EviiT2_lllS9_lllT3_llli.num_agpr, 0
	.set _ZL19rocblas_dgmm_kernelILi16ELi16ELb0EPKPK19rocblas_complex_numIfEPKPS1_EviiT2_lllS9_lllT3_llli.numbered_sgpr, 30
	.set _ZL19rocblas_dgmm_kernelILi16ELi16ELb0EPKPK19rocblas_complex_numIfEPKPS1_EviiT2_lllS9_lllT3_llli.num_named_barrier, 0
	.set _ZL19rocblas_dgmm_kernelILi16ELi16ELb0EPKPK19rocblas_complex_numIfEPKPS1_EviiT2_lllS9_lllT3_llli.private_seg_size, 0
	.set _ZL19rocblas_dgmm_kernelILi16ELi16ELb0EPKPK19rocblas_complex_numIfEPKPS1_EviiT2_lllS9_lllT3_llli.uses_vcc, 1
	.set _ZL19rocblas_dgmm_kernelILi16ELi16ELb0EPKPK19rocblas_complex_numIfEPKPS1_EviiT2_lllS9_lllT3_llli.uses_flat_scratch, 0
	.set _ZL19rocblas_dgmm_kernelILi16ELi16ELb0EPKPK19rocblas_complex_numIfEPKPS1_EviiT2_lllS9_lllT3_llli.has_dyn_sized_stack, 0
	.set _ZL19rocblas_dgmm_kernelILi16ELi16ELb0EPKPK19rocblas_complex_numIfEPKPS1_EviiT2_lllS9_lllT3_llli.has_recursion, 0
	.set _ZL19rocblas_dgmm_kernelILi16ELi16ELb0EPKPK19rocblas_complex_numIfEPKPS1_EviiT2_lllS9_lllT3_llli.has_indirect_call, 0
	.section	.AMDGPU.csdata,"",@progbits
; Kernel info:
; codeLenInByte = 552
; TotalNumSgprs: 32
; NumVgprs: 24
; ScratchSize: 0
; MemoryBound: 0
; FloatMode: 240
; IeeeMode: 1
; LDSByteSize: 0 bytes/workgroup (compile time only)
; SGPRBlocks: 0
; VGPRBlocks: 1
; NumSGPRsForWavesPerEU: 32
; NumVGPRsForWavesPerEU: 24
; NamedBarCnt: 0
; Occupancy: 16
; WaveLimiterHint : 1
; COMPUTE_PGM_RSRC2:SCRATCH_EN: 0
; COMPUTE_PGM_RSRC2:USER_SGPR: 2
; COMPUTE_PGM_RSRC2:TRAP_HANDLER: 0
; COMPUTE_PGM_RSRC2:TGID_X_EN: 1
; COMPUTE_PGM_RSRC2:TGID_Y_EN: 1
; COMPUTE_PGM_RSRC2:TGID_Z_EN: 1
; COMPUTE_PGM_RSRC2:TIDIG_COMP_CNT: 1
	.section	.text._ZL26rocblas_dgmm_gfx942_kernelILi32ELi32ELb1EPKPK19rocblas_complex_numIfEPKPS1_EviiT2_lllS9_lllT3_lll,"axG",@progbits,_ZL26rocblas_dgmm_gfx942_kernelILi32ELi32ELb1EPKPK19rocblas_complex_numIfEPKPS1_EviiT2_lllS9_lllT3_lll,comdat
	.globl	_ZL26rocblas_dgmm_gfx942_kernelILi32ELi32ELb1EPKPK19rocblas_complex_numIfEPKPS1_EviiT2_lllS9_lllT3_lll ; -- Begin function _ZL26rocblas_dgmm_gfx942_kernelILi32ELi32ELb1EPKPK19rocblas_complex_numIfEPKPS1_EviiT2_lllS9_lllT3_lll
	.p2align	8
	.type	_ZL26rocblas_dgmm_gfx942_kernelILi32ELi32ELb1EPKPK19rocblas_complex_numIfEPKPS1_EviiT2_lllS9_lllT3_lll,@function
_ZL26rocblas_dgmm_gfx942_kernelILi32ELi32ELb1EPKPK19rocblas_complex_numIfEPKPS1_EviiT2_lllS9_lllT3_lll: ; @_ZL26rocblas_dgmm_gfx942_kernelILi32ELi32ELb1EPKPK19rocblas_complex_numIfEPKPS1_EviiT2_lllS9_lllT3_lll
; %bb.0:
	s_endpgm
	.section	.rodata,"a",@progbits
	.p2align	6, 0x0
	.amdhsa_kernel _ZL26rocblas_dgmm_gfx942_kernelILi32ELi32ELb1EPKPK19rocblas_complex_numIfEPKPS1_EviiT2_lllS9_lllT3_lll
		.amdhsa_group_segment_fixed_size 0
		.amdhsa_private_segment_fixed_size 0
		.amdhsa_kernarg_size 104
		.amdhsa_user_sgpr_count 2
		.amdhsa_user_sgpr_dispatch_ptr 0
		.amdhsa_user_sgpr_queue_ptr 0
		.amdhsa_user_sgpr_kernarg_segment_ptr 1
		.amdhsa_user_sgpr_dispatch_id 0
		.amdhsa_user_sgpr_kernarg_preload_length 0
		.amdhsa_user_sgpr_kernarg_preload_offset 0
		.amdhsa_user_sgpr_private_segment_size 0
		.amdhsa_wavefront_size32 1
		.amdhsa_uses_dynamic_stack 0
		.amdhsa_enable_private_segment 0
		.amdhsa_system_sgpr_workgroup_id_x 1
		.amdhsa_system_sgpr_workgroup_id_y 0
		.amdhsa_system_sgpr_workgroup_id_z 0
		.amdhsa_system_sgpr_workgroup_info 0
		.amdhsa_system_vgpr_workitem_id 0
		.amdhsa_next_free_vgpr 1
		.amdhsa_next_free_sgpr 1
		.amdhsa_named_barrier_count 0
		.amdhsa_reserve_vcc 0
		.amdhsa_float_round_mode_32 0
		.amdhsa_float_round_mode_16_64 0
		.amdhsa_float_denorm_mode_32 3
		.amdhsa_float_denorm_mode_16_64 3
		.amdhsa_fp16_overflow 0
		.amdhsa_memory_ordered 1
		.amdhsa_forward_progress 1
		.amdhsa_inst_pref_size 1
		.amdhsa_round_robin_scheduling 0
		.amdhsa_exception_fp_ieee_invalid_op 0
		.amdhsa_exception_fp_denorm_src 0
		.amdhsa_exception_fp_ieee_div_zero 0
		.amdhsa_exception_fp_ieee_overflow 0
		.amdhsa_exception_fp_ieee_underflow 0
		.amdhsa_exception_fp_ieee_inexact 0
		.amdhsa_exception_int_div_zero 0
	.end_amdhsa_kernel
	.section	.text._ZL26rocblas_dgmm_gfx942_kernelILi32ELi32ELb1EPKPK19rocblas_complex_numIfEPKPS1_EviiT2_lllS9_lllT3_lll,"axG",@progbits,_ZL26rocblas_dgmm_gfx942_kernelILi32ELi32ELb1EPKPK19rocblas_complex_numIfEPKPS1_EviiT2_lllS9_lllT3_lll,comdat
.Lfunc_end26:
	.size	_ZL26rocblas_dgmm_gfx942_kernelILi32ELi32ELb1EPKPK19rocblas_complex_numIfEPKPS1_EviiT2_lllS9_lllT3_lll, .Lfunc_end26-_ZL26rocblas_dgmm_gfx942_kernelILi32ELi32ELb1EPKPK19rocblas_complex_numIfEPKPS1_EviiT2_lllS9_lllT3_lll
                                        ; -- End function
	.set _ZL26rocblas_dgmm_gfx942_kernelILi32ELi32ELb1EPKPK19rocblas_complex_numIfEPKPS1_EviiT2_lllS9_lllT3_lll.num_vgpr, 0
	.set _ZL26rocblas_dgmm_gfx942_kernelILi32ELi32ELb1EPKPK19rocblas_complex_numIfEPKPS1_EviiT2_lllS9_lllT3_lll.num_agpr, 0
	.set _ZL26rocblas_dgmm_gfx942_kernelILi32ELi32ELb1EPKPK19rocblas_complex_numIfEPKPS1_EviiT2_lllS9_lllT3_lll.numbered_sgpr, 0
	.set _ZL26rocblas_dgmm_gfx942_kernelILi32ELi32ELb1EPKPK19rocblas_complex_numIfEPKPS1_EviiT2_lllS9_lllT3_lll.num_named_barrier, 0
	.set _ZL26rocblas_dgmm_gfx942_kernelILi32ELi32ELb1EPKPK19rocblas_complex_numIfEPKPS1_EviiT2_lllS9_lllT3_lll.private_seg_size, 0
	.set _ZL26rocblas_dgmm_gfx942_kernelILi32ELi32ELb1EPKPK19rocblas_complex_numIfEPKPS1_EviiT2_lllS9_lllT3_lll.uses_vcc, 0
	.set _ZL26rocblas_dgmm_gfx942_kernelILi32ELi32ELb1EPKPK19rocblas_complex_numIfEPKPS1_EviiT2_lllS9_lllT3_lll.uses_flat_scratch, 0
	.set _ZL26rocblas_dgmm_gfx942_kernelILi32ELi32ELb1EPKPK19rocblas_complex_numIfEPKPS1_EviiT2_lllS9_lllT3_lll.has_dyn_sized_stack, 0
	.set _ZL26rocblas_dgmm_gfx942_kernelILi32ELi32ELb1EPKPK19rocblas_complex_numIfEPKPS1_EviiT2_lllS9_lllT3_lll.has_recursion, 0
	.set _ZL26rocblas_dgmm_gfx942_kernelILi32ELi32ELb1EPKPK19rocblas_complex_numIfEPKPS1_EviiT2_lllS9_lllT3_lll.has_indirect_call, 0
	.section	.AMDGPU.csdata,"",@progbits
; Kernel info:
; codeLenInByte = 4
; TotalNumSgprs: 0
; NumVgprs: 0
; ScratchSize: 0
; MemoryBound: 0
; FloatMode: 240
; IeeeMode: 1
; LDSByteSize: 0 bytes/workgroup (compile time only)
; SGPRBlocks: 0
; VGPRBlocks: 0
; NumSGPRsForWavesPerEU: 1
; NumVGPRsForWavesPerEU: 1
; NamedBarCnt: 0
; Occupancy: 16
; WaveLimiterHint : 0
; COMPUTE_PGM_RSRC2:SCRATCH_EN: 0
; COMPUTE_PGM_RSRC2:USER_SGPR: 2
; COMPUTE_PGM_RSRC2:TRAP_HANDLER: 0
; COMPUTE_PGM_RSRC2:TGID_X_EN: 1
; COMPUTE_PGM_RSRC2:TGID_Y_EN: 0
; COMPUTE_PGM_RSRC2:TGID_Z_EN: 0
; COMPUTE_PGM_RSRC2:TIDIG_COMP_CNT: 0
	.section	.text._ZL19rocblas_dgmm_kernelILi16ELi16ELb1EPKPK19rocblas_complex_numIfEPKPS1_EviiT2_lllS9_lllT3_llli,"axG",@progbits,_ZL19rocblas_dgmm_kernelILi16ELi16ELb1EPKPK19rocblas_complex_numIfEPKPS1_EviiT2_lllS9_lllT3_llli,comdat
	.globl	_ZL19rocblas_dgmm_kernelILi16ELi16ELb1EPKPK19rocblas_complex_numIfEPKPS1_EviiT2_lllS9_lllT3_llli ; -- Begin function _ZL19rocblas_dgmm_kernelILi16ELi16ELb1EPKPK19rocblas_complex_numIfEPKPS1_EviiT2_lllS9_lllT3_llli
	.p2align	8
	.type	_ZL19rocblas_dgmm_kernelILi16ELi16ELb1EPKPK19rocblas_complex_numIfEPKPS1_EviiT2_lllS9_lllT3_llli,@function
_ZL19rocblas_dgmm_kernelILi16ELi16ELb1EPKPK19rocblas_complex_numIfEPKPS1_EviiT2_lllS9_lllT3_llli: ; @_ZL19rocblas_dgmm_kernelILi16ELi16ELb1EPKPK19rocblas_complex_numIfEPKPS1_EviiT2_lllS9_lllT3_llli
; %bb.0:
	s_load_b32 s24, s[0:1], 0x68
	s_bfe_u32 s2, ttmp6, 0x40014
	s_lshr_b32 s3, ttmp7, 16
	s_add_co_i32 s2, s2, 1
	s_bfe_u32 s4, ttmp6, 0x40008
	s_mul_i32 s2, s3, s2
	s_getreg_b32 s12, hwreg(HW_REG_IB_STS2, 6, 4)
	s_add_co_i32 s4, s4, s2
	s_cmp_eq_u32 s12, 0
	s_cselect_b32 s25, s3, s4
	s_wait_kmcnt 0x0
	s_cmp_ge_u32 s25, s24
	s_cbranch_scc1 .LBB27_6
; %bb.1:
	s_bfe_u32 s8, ttmp6, 0x40010
	s_bfe_u32 s14, ttmp6, 0x4000c
	s_and_b32 s22, ttmp7, 0xffff
	s_add_co_i32 s13, s8, 1
	s_add_co_i32 s14, s14, 1
	s_clause 0x1
	s_load_b64 s[2:3], s[0:1], 0x0
	s_load_b128 s[4:7], s[0:1], 0x8
	s_mul_i32 s13, s22, s13
	s_bfe_u32 s15, ttmp6, 0x40004
	s_and_b32 s18, ttmp6, 15
	s_mul_i32 s14, ttmp9, s14
	s_add_co_i32 s23, s15, s13
	s_add_co_i32 s20, s18, s14
	s_clause 0x1
	s_load_b64 s[16:17], s[0:1], 0x18
	s_load_b128 s[8:11], s[0:1], 0x28
	s_cmp_eq_u32 s12, 0
	v_and_b32_e32 v1, 0x3ff, v0
	s_clause 0x1
	s_load_b64 s[18:19], s[0:1], 0x38
	s_load_b128 s[12:15], s[0:1], 0x48
	s_cselect_b32 s26, ttmp9, s20
	s_load_b64 s[20:21], s[0:1], 0x58
	v_bfe_u32 v2, v0, 10, 10
	v_lshl_add_u32 v0, s26, 4, v1
	s_cselect_b32 s22, s22, s23
	s_wait_xcnt 0x0
	s_add_nc_u64 s[0:1], s[0:1], 0x70
	v_lshl_add_u32 v8, s22, 4, v2
	v_ashrrev_i32_e32 v1, 31, v0
	s_wait_kmcnt 0x0
	v_cmp_gt_i32_e32 vcc_lo, s2, v0
	s_lshl_b64 s[6:7], s[6:7], 3
	v_cmp_gt_i32_e64 s2, s3, v8
	v_lshlrev_b64_e32 v[0:1], 3, v[0:1]
	s_lshl_b64 s[10:11], s[10:11], 3
	s_and_b32 s2, vcc_lo, s2
	s_lshl_b64 s[14:15], s[14:15], 3
	s_branch .LBB27_3
.LBB27_2:                               ;   in Loop: Header=BB27_3 Depth=1
	s_or_b32 exec_lo, exec_lo, s26
	s_add_co_i32 s25, s25, 0x10000
	s_delay_alu instid0(SALU_CYCLE_1)
	s_cmp_ge_u32 s25, s24
	s_cbranch_scc1 .LBB27_6
.LBB27_3:                               ; =>This Loop Header: Depth=1
                                        ;     Child Loop BB27_5 Depth 2
	s_and_saveexec_b32 s26, s2
	s_cbranch_execz .LBB27_2
; %bb.4:                                ;   in Loop: Header=BB27_3 Depth=1
	s_load_b64 s[22:23], s[4:5], s25 offset:0x0 scale_offset
	s_load_b64 s[28:29], s[12:13], s25 offset:0x0 scale_offset
	;; [unrolled: 1-line block ×3, first 2 shown]
	s_load_b32 s27, s[0:1], 0x4
	v_mov_b32_e32 v6, v8
	s_wait_kmcnt 0x0
	s_add_nc_u64 s[22:23], s[22:23], s[6:7]
	s_add_nc_u64 s[28:29], s[28:29], s[14:15]
	v_add_nc_u64_e32 v[2:3], s[22:23], v[0:1]
	v_add_nc_u64_e32 v[4:5], s[28:29], v[0:1]
	s_add_nc_u64 s[22:23], s[30:31], s[10:11]
	s_lshl_b32 s27, s27, 4
	s_mov_b32 s28, 0
.LBB27_5:                               ;   Parent Loop BB27_3 Depth=1
                                        ; =>  This Inner Loop Header: Depth=2
	v_ashrrev_i32_e32 v7, 31, v6
	s_delay_alu instid0(VALU_DEP_1) | instskip(SKIP_1) | instid1(VALU_DEP_2)
	v_mul_u64_e32 v[10:11], s[16:17], v[6:7]
	v_mul_u64_e32 v[12:13], s[18:19], v[6:7]
	v_lshl_add_u64 v[10:11], v[10:11], 3, v[2:3]
	s_delay_alu instid0(VALU_DEP_2)
	v_lshl_add_u64 v[12:13], v[12:13], 3, s[22:23]
	flat_load_b64 v[14:15], v[10:11]
	flat_load_b64 v[16:17], v[12:13]
	s_wait_xcnt 0x1
	v_mul_u64_e32 v[10:11], s[20:21], v[6:7]
	v_add_nc_u32_e32 v6, s27, v6
	s_delay_alu instid0(VALU_DEP_1) | instskip(SKIP_1) | instid1(VALU_DEP_3)
	v_cmp_le_i32_e32 vcc_lo, s3, v6
	s_or_b32 s28, vcc_lo, s28
	v_lshl_add_u64 v[10:11], v[10:11], 3, v[4:5]
	s_wait_loadcnt_dscnt 0x0
	s_wait_xcnt 0x0
	v_pk_mul_f32 v[12:13], v[16:17], v[14:15] op_sel:[1,1] op_sel_hi:[0,1]
	s_delay_alu instid0(VALU_DEP_1) | instskip(SKIP_1) | instid1(VALU_DEP_2)
	v_pk_fma_f32 v[18:19], v[16:17], v[14:15], v[12:13] op_sel_hi:[1,0,1]
	v_pk_fma_f32 v[12:13], v[16:17], v[14:15], v[12:13] neg_lo:[0,0,1] neg_hi:[0,0,1]
	v_mov_b32_e32 v13, v19
	flat_store_b64 v[10:11], v[12:13]
	s_wait_xcnt 0x0
	s_and_not1_b32 exec_lo, exec_lo, s28
	s_cbranch_execnz .LBB27_5
	s_branch .LBB27_2
.LBB27_6:
	s_endpgm
	.section	.rodata,"a",@progbits
	.p2align	6, 0x0
	.amdhsa_kernel _ZL19rocblas_dgmm_kernelILi16ELi16ELb1EPKPK19rocblas_complex_numIfEPKPS1_EviiT2_lllS9_lllT3_llli
		.amdhsa_group_segment_fixed_size 0
		.amdhsa_private_segment_fixed_size 0
		.amdhsa_kernarg_size 368
		.amdhsa_user_sgpr_count 2
		.amdhsa_user_sgpr_dispatch_ptr 0
		.amdhsa_user_sgpr_queue_ptr 0
		.amdhsa_user_sgpr_kernarg_segment_ptr 1
		.amdhsa_user_sgpr_dispatch_id 0
		.amdhsa_user_sgpr_kernarg_preload_length 0
		.amdhsa_user_sgpr_kernarg_preload_offset 0
		.amdhsa_user_sgpr_private_segment_size 0
		.amdhsa_wavefront_size32 1
		.amdhsa_uses_dynamic_stack 0
		.amdhsa_enable_private_segment 0
		.amdhsa_system_sgpr_workgroup_id_x 1
		.amdhsa_system_sgpr_workgroup_id_y 1
		.amdhsa_system_sgpr_workgroup_id_z 1
		.amdhsa_system_sgpr_workgroup_info 0
		.amdhsa_system_vgpr_workitem_id 1
		.amdhsa_next_free_vgpr 20
		.amdhsa_next_free_sgpr 32
		.amdhsa_named_barrier_count 0
		.amdhsa_reserve_vcc 1
		.amdhsa_float_round_mode_32 0
		.amdhsa_float_round_mode_16_64 0
		.amdhsa_float_denorm_mode_32 3
		.amdhsa_float_denorm_mode_16_64 3
		.amdhsa_fp16_overflow 0
		.amdhsa_memory_ordered 1
		.amdhsa_forward_progress 1
		.amdhsa_inst_pref_size 5
		.amdhsa_round_robin_scheduling 0
		.amdhsa_exception_fp_ieee_invalid_op 0
		.amdhsa_exception_fp_denorm_src 0
		.amdhsa_exception_fp_ieee_div_zero 0
		.amdhsa_exception_fp_ieee_overflow 0
		.amdhsa_exception_fp_ieee_underflow 0
		.amdhsa_exception_fp_ieee_inexact 0
		.amdhsa_exception_int_div_zero 0
	.end_amdhsa_kernel
	.section	.text._ZL19rocblas_dgmm_kernelILi16ELi16ELb1EPKPK19rocblas_complex_numIfEPKPS1_EviiT2_lllS9_lllT3_llli,"axG",@progbits,_ZL19rocblas_dgmm_kernelILi16ELi16ELb1EPKPK19rocblas_complex_numIfEPKPS1_EviiT2_lllS9_lllT3_llli,comdat
.Lfunc_end27:
	.size	_ZL19rocblas_dgmm_kernelILi16ELi16ELb1EPKPK19rocblas_complex_numIfEPKPS1_EviiT2_lllS9_lllT3_llli, .Lfunc_end27-_ZL19rocblas_dgmm_kernelILi16ELi16ELb1EPKPK19rocblas_complex_numIfEPKPS1_EviiT2_lllS9_lllT3_llli
                                        ; -- End function
	.set _ZL19rocblas_dgmm_kernelILi16ELi16ELb1EPKPK19rocblas_complex_numIfEPKPS1_EviiT2_lllS9_lllT3_llli.num_vgpr, 20
	.set _ZL19rocblas_dgmm_kernelILi16ELi16ELb1EPKPK19rocblas_complex_numIfEPKPS1_EviiT2_lllS9_lllT3_llli.num_agpr, 0
	.set _ZL19rocblas_dgmm_kernelILi16ELi16ELb1EPKPK19rocblas_complex_numIfEPKPS1_EviiT2_lllS9_lllT3_llli.numbered_sgpr, 32
	.set _ZL19rocblas_dgmm_kernelILi16ELi16ELb1EPKPK19rocblas_complex_numIfEPKPS1_EviiT2_lllS9_lllT3_llli.num_named_barrier, 0
	.set _ZL19rocblas_dgmm_kernelILi16ELi16ELb1EPKPK19rocblas_complex_numIfEPKPS1_EviiT2_lllS9_lllT3_llli.private_seg_size, 0
	.set _ZL19rocblas_dgmm_kernelILi16ELi16ELb1EPKPK19rocblas_complex_numIfEPKPS1_EviiT2_lllS9_lllT3_llli.uses_vcc, 1
	.set _ZL19rocblas_dgmm_kernelILi16ELi16ELb1EPKPK19rocblas_complex_numIfEPKPS1_EviiT2_lllS9_lllT3_llli.uses_flat_scratch, 0
	.set _ZL19rocblas_dgmm_kernelILi16ELi16ELb1EPKPK19rocblas_complex_numIfEPKPS1_EviiT2_lllS9_lllT3_llli.has_dyn_sized_stack, 0
	.set _ZL19rocblas_dgmm_kernelILi16ELi16ELb1EPKPK19rocblas_complex_numIfEPKPS1_EviiT2_lllS9_lllT3_llli.has_recursion, 0
	.set _ZL19rocblas_dgmm_kernelILi16ELi16ELb1EPKPK19rocblas_complex_numIfEPKPS1_EviiT2_lllS9_lllT3_llli.has_indirect_call, 0
	.section	.AMDGPU.csdata,"",@progbits
; Kernel info:
; codeLenInByte = 556
; TotalNumSgprs: 34
; NumVgprs: 20
; ScratchSize: 0
; MemoryBound: 0
; FloatMode: 240
; IeeeMode: 1
; LDSByteSize: 0 bytes/workgroup (compile time only)
; SGPRBlocks: 0
; VGPRBlocks: 1
; NumSGPRsForWavesPerEU: 34
; NumVGPRsForWavesPerEU: 20
; NamedBarCnt: 0
; Occupancy: 16
; WaveLimiterHint : 1
; COMPUTE_PGM_RSRC2:SCRATCH_EN: 0
; COMPUTE_PGM_RSRC2:USER_SGPR: 2
; COMPUTE_PGM_RSRC2:TRAP_HANDLER: 0
; COMPUTE_PGM_RSRC2:TGID_X_EN: 1
; COMPUTE_PGM_RSRC2:TGID_Y_EN: 1
; COMPUTE_PGM_RSRC2:TGID_Z_EN: 1
; COMPUTE_PGM_RSRC2:TIDIG_COMP_CNT: 1
	.section	.text._ZL26rocblas_dgmm_gfx942_kernelILi32ELi32ELb0EPKPK19rocblas_complex_numIdEPKPS1_EviiT2_lllS9_lllT3_lll,"axG",@progbits,_ZL26rocblas_dgmm_gfx942_kernelILi32ELi32ELb0EPKPK19rocblas_complex_numIdEPKPS1_EviiT2_lllS9_lllT3_lll,comdat
	.globl	_ZL26rocblas_dgmm_gfx942_kernelILi32ELi32ELb0EPKPK19rocblas_complex_numIdEPKPS1_EviiT2_lllS9_lllT3_lll ; -- Begin function _ZL26rocblas_dgmm_gfx942_kernelILi32ELi32ELb0EPKPK19rocblas_complex_numIdEPKPS1_EviiT2_lllS9_lllT3_lll
	.p2align	8
	.type	_ZL26rocblas_dgmm_gfx942_kernelILi32ELi32ELb0EPKPK19rocblas_complex_numIdEPKPS1_EviiT2_lllS9_lllT3_lll,@function
_ZL26rocblas_dgmm_gfx942_kernelILi32ELi32ELb0EPKPK19rocblas_complex_numIdEPKPS1_EviiT2_lllS9_lllT3_lll: ; @_ZL26rocblas_dgmm_gfx942_kernelILi32ELi32ELb0EPKPK19rocblas_complex_numIdEPKPS1_EviiT2_lllS9_lllT3_lll
; %bb.0:
	s_endpgm
	.section	.rodata,"a",@progbits
	.p2align	6, 0x0
	.amdhsa_kernel _ZL26rocblas_dgmm_gfx942_kernelILi32ELi32ELb0EPKPK19rocblas_complex_numIdEPKPS1_EviiT2_lllS9_lllT3_lll
		.amdhsa_group_segment_fixed_size 0
		.amdhsa_private_segment_fixed_size 0
		.amdhsa_kernarg_size 104
		.amdhsa_user_sgpr_count 2
		.amdhsa_user_sgpr_dispatch_ptr 0
		.amdhsa_user_sgpr_queue_ptr 0
		.amdhsa_user_sgpr_kernarg_segment_ptr 1
		.amdhsa_user_sgpr_dispatch_id 0
		.amdhsa_user_sgpr_kernarg_preload_length 0
		.amdhsa_user_sgpr_kernarg_preload_offset 0
		.amdhsa_user_sgpr_private_segment_size 0
		.amdhsa_wavefront_size32 1
		.amdhsa_uses_dynamic_stack 0
		.amdhsa_enable_private_segment 0
		.amdhsa_system_sgpr_workgroup_id_x 1
		.amdhsa_system_sgpr_workgroup_id_y 0
		.amdhsa_system_sgpr_workgroup_id_z 0
		.amdhsa_system_sgpr_workgroup_info 0
		.amdhsa_system_vgpr_workitem_id 0
		.amdhsa_next_free_vgpr 1
		.amdhsa_next_free_sgpr 1
		.amdhsa_named_barrier_count 0
		.amdhsa_reserve_vcc 0
		.amdhsa_float_round_mode_32 0
		.amdhsa_float_round_mode_16_64 0
		.amdhsa_float_denorm_mode_32 3
		.amdhsa_float_denorm_mode_16_64 3
		.amdhsa_fp16_overflow 0
		.amdhsa_memory_ordered 1
		.amdhsa_forward_progress 1
		.amdhsa_inst_pref_size 1
		.amdhsa_round_robin_scheduling 0
		.amdhsa_exception_fp_ieee_invalid_op 0
		.amdhsa_exception_fp_denorm_src 0
		.amdhsa_exception_fp_ieee_div_zero 0
		.amdhsa_exception_fp_ieee_overflow 0
		.amdhsa_exception_fp_ieee_underflow 0
		.amdhsa_exception_fp_ieee_inexact 0
		.amdhsa_exception_int_div_zero 0
	.end_amdhsa_kernel
	.section	.text._ZL26rocblas_dgmm_gfx942_kernelILi32ELi32ELb0EPKPK19rocblas_complex_numIdEPKPS1_EviiT2_lllS9_lllT3_lll,"axG",@progbits,_ZL26rocblas_dgmm_gfx942_kernelILi32ELi32ELb0EPKPK19rocblas_complex_numIdEPKPS1_EviiT2_lllS9_lllT3_lll,comdat
.Lfunc_end28:
	.size	_ZL26rocblas_dgmm_gfx942_kernelILi32ELi32ELb0EPKPK19rocblas_complex_numIdEPKPS1_EviiT2_lllS9_lllT3_lll, .Lfunc_end28-_ZL26rocblas_dgmm_gfx942_kernelILi32ELi32ELb0EPKPK19rocblas_complex_numIdEPKPS1_EviiT2_lllS9_lllT3_lll
                                        ; -- End function
	.set _ZL26rocblas_dgmm_gfx942_kernelILi32ELi32ELb0EPKPK19rocblas_complex_numIdEPKPS1_EviiT2_lllS9_lllT3_lll.num_vgpr, 0
	.set _ZL26rocblas_dgmm_gfx942_kernelILi32ELi32ELb0EPKPK19rocblas_complex_numIdEPKPS1_EviiT2_lllS9_lllT3_lll.num_agpr, 0
	.set _ZL26rocblas_dgmm_gfx942_kernelILi32ELi32ELb0EPKPK19rocblas_complex_numIdEPKPS1_EviiT2_lllS9_lllT3_lll.numbered_sgpr, 0
	.set _ZL26rocblas_dgmm_gfx942_kernelILi32ELi32ELb0EPKPK19rocblas_complex_numIdEPKPS1_EviiT2_lllS9_lllT3_lll.num_named_barrier, 0
	.set _ZL26rocblas_dgmm_gfx942_kernelILi32ELi32ELb0EPKPK19rocblas_complex_numIdEPKPS1_EviiT2_lllS9_lllT3_lll.private_seg_size, 0
	.set _ZL26rocblas_dgmm_gfx942_kernelILi32ELi32ELb0EPKPK19rocblas_complex_numIdEPKPS1_EviiT2_lllS9_lllT3_lll.uses_vcc, 0
	.set _ZL26rocblas_dgmm_gfx942_kernelILi32ELi32ELb0EPKPK19rocblas_complex_numIdEPKPS1_EviiT2_lllS9_lllT3_lll.uses_flat_scratch, 0
	.set _ZL26rocblas_dgmm_gfx942_kernelILi32ELi32ELb0EPKPK19rocblas_complex_numIdEPKPS1_EviiT2_lllS9_lllT3_lll.has_dyn_sized_stack, 0
	.set _ZL26rocblas_dgmm_gfx942_kernelILi32ELi32ELb0EPKPK19rocblas_complex_numIdEPKPS1_EviiT2_lllS9_lllT3_lll.has_recursion, 0
	.set _ZL26rocblas_dgmm_gfx942_kernelILi32ELi32ELb0EPKPK19rocblas_complex_numIdEPKPS1_EviiT2_lllS9_lllT3_lll.has_indirect_call, 0
	.section	.AMDGPU.csdata,"",@progbits
; Kernel info:
; codeLenInByte = 4
; TotalNumSgprs: 0
; NumVgprs: 0
; ScratchSize: 0
; MemoryBound: 0
; FloatMode: 240
; IeeeMode: 1
; LDSByteSize: 0 bytes/workgroup (compile time only)
; SGPRBlocks: 0
; VGPRBlocks: 0
; NumSGPRsForWavesPerEU: 1
; NumVGPRsForWavesPerEU: 1
; NamedBarCnt: 0
; Occupancy: 16
; WaveLimiterHint : 0
; COMPUTE_PGM_RSRC2:SCRATCH_EN: 0
; COMPUTE_PGM_RSRC2:USER_SGPR: 2
; COMPUTE_PGM_RSRC2:TRAP_HANDLER: 0
; COMPUTE_PGM_RSRC2:TGID_X_EN: 1
; COMPUTE_PGM_RSRC2:TGID_Y_EN: 0
; COMPUTE_PGM_RSRC2:TGID_Z_EN: 0
; COMPUTE_PGM_RSRC2:TIDIG_COMP_CNT: 0
	.section	.text._ZL19rocblas_dgmm_kernelILi16ELi16ELb0EPKPK19rocblas_complex_numIdEPKPS1_EviiT2_lllS9_lllT3_llli,"axG",@progbits,_ZL19rocblas_dgmm_kernelILi16ELi16ELb0EPKPK19rocblas_complex_numIdEPKPS1_EviiT2_lllS9_lllT3_llli,comdat
	.globl	_ZL19rocblas_dgmm_kernelILi16ELi16ELb0EPKPK19rocblas_complex_numIdEPKPS1_EviiT2_lllS9_lllT3_llli ; -- Begin function _ZL19rocblas_dgmm_kernelILi16ELi16ELb0EPKPK19rocblas_complex_numIdEPKPS1_EviiT2_lllS9_lllT3_llli
	.p2align	8
	.type	_ZL19rocblas_dgmm_kernelILi16ELi16ELb0EPKPK19rocblas_complex_numIdEPKPS1_EviiT2_lllS9_lllT3_llli,@function
_ZL19rocblas_dgmm_kernelILi16ELi16ELb0EPKPK19rocblas_complex_numIdEPKPS1_EviiT2_lllS9_lllT3_llli: ; @_ZL19rocblas_dgmm_kernelILi16ELi16ELb0EPKPK19rocblas_complex_numIdEPKPS1_EviiT2_lllS9_lllT3_llli
; %bb.0:
	s_load_b32 s20, s[0:1], 0x68
	s_bfe_u32 s2, ttmp6, 0x40014
	s_lshr_b32 s3, ttmp7, 16
	s_add_co_i32 s2, s2, 1
	s_bfe_u32 s5, ttmp6, 0x40008
	s_mul_i32 s4, s3, s2
	s_getreg_b32 s2, hwreg(HW_REG_IB_STS2, 6, 4)
	s_add_co_i32 s5, s5, s4
	s_cmp_eq_u32 s2, 0
	s_cselect_b32 s21, s3, s5
	s_wait_kmcnt 0x0
	s_cmp_ge_u32 s21, s20
	s_cbranch_scc1 .LBB29_6
; %bb.1:
	s_bfe_u32 s3, ttmp6, 0x40010
	s_bfe_u32 s4, ttmp6, 0x4000c
	s_load_b64 s[8:9], s[0:1], 0x38
	s_and_b32 s22, ttmp7, 0xffff
	s_add_co_i32 s3, s3, 1
	s_add_co_i32 s4, s4, 1
	s_mul_i32 s3, s22, s3
	s_bfe_u32 s5, ttmp6, 0x40004
	s_and_b32 s6, ttmp6, 15
	s_mul_i32 s4, ttmp9, s4
	s_add_co_i32 s23, s5, s3
	s_add_co_i32 s6, s6, s4
	v_and_b32_e32 v1, 0x3ff, v0
	s_cmp_eq_u32 s2, 0
	s_load_b64 s[18:19], s[0:1], 0x58
	s_cselect_b32 s2, ttmp9, s6
	s_load_b128 s[4:7], s[0:1], 0x48
	v_lshl_add_u32 v4, s2, 4, v1
	v_bfe_u32 v0, v0, 10, 10
	s_cselect_b32 s22, s22, s23
	s_delay_alu instid0(VALU_DEP_2) | instskip(NEXT) | instid1(VALU_DEP_2)
	v_ashrrev_i32_e32 v5, 31, v4
	v_lshl_add_u32 v12, s22, 4, v0
	s_wait_kmcnt 0x0
	s_delay_alu instid0(VALU_DEP_2)
	v_mul_u64_e32 v[2:3], s[8:9], v[4:5]
	s_clause 0x3
	s_load_b64 s[2:3], s[0:1], 0x0
	s_load_b128 s[8:11], s[0:1], 0x8
	s_load_b128 s[12:15], s[0:1], 0x28
	s_load_b64 s[16:17], s[0:1], 0x18
	v_lshlrev_b64_e32 v[0:1], 4, v[4:5]
	s_wait_xcnt 0x0
	s_add_nc_u64 s[0:1], s[0:1], 0x70
	s_lshl_b64 s[6:7], s[6:7], 4
	s_wait_kmcnt 0x0
	v_cmp_gt_i32_e32 vcc_lo, s2, v4
	v_cmp_gt_i32_e64 s2, s3, v12
	s_lshl_b64 s[10:11], s[10:11], 4
	s_lshl_b64 s[14:15], s[14:15], 4
	s_and_b32 s2, vcc_lo, s2
	s_branch .LBB29_3
.LBB29_2:                               ;   in Loop: Header=BB29_3 Depth=1
	s_or_b32 exec_lo, exec_lo, s22
	s_add_co_i32 s21, s21, 0x10000
	s_delay_alu instid0(SALU_CYCLE_1)
	s_cmp_ge_u32 s21, s20
	s_cbranch_scc1 .LBB29_6
.LBB29_3:                               ; =>This Loop Header: Depth=1
                                        ;     Child Loop BB29_5 Depth 2
	s_and_saveexec_b32 s22, s2
	s_cbranch_execz .LBB29_2
; %bb.4:                                ;   in Loop: Header=BB29_3 Depth=1
	s_load_b64 s[24:25], s[8:9], s21 offset:0x0 scale_offset
	s_load_b64 s[26:27], s[12:13], s21 offset:0x0 scale_offset
	;; [unrolled: 1-line block ×3, first 2 shown]
	s_load_b32 s23, s[0:1], 0x4
	v_mov_b32_e32 v10, v12
	s_wait_kmcnt 0x0
	s_add_nc_u64 s[24:25], s[24:25], s[10:11]
	s_add_nc_u64 s[26:27], s[26:27], s[14:15]
	;; [unrolled: 1-line block ×3, first 2 shown]
	v_add_nc_u64_e32 v[4:5], s[24:25], v[0:1]
	v_add_nc_u64_e32 v[6:7], s[28:29], v[0:1]
	v_lshl_add_u64 v[8:9], v[2:3], 4, s[26:27]
	s_lshl_b32 s23, s23, 4
	s_mov_b32 s24, 0
.LBB29_5:                               ;   Parent Loop BB29_3 Depth=1
                                        ; =>  This Inner Loop Header: Depth=2
	v_ashrrev_i32_e32 v11, 31, v10
	s_delay_alu instid0(VALU_DEP_1) | instskip(NEXT) | instid1(VALU_DEP_1)
	v_mul_u64_e32 v[14:15], s[16:17], v[10:11]
	v_lshl_add_u64 v[22:23], v[14:15], 4, v[4:5]
	flat_load_b128 v[14:17], v[8:9]
	flat_load_b128 v[18:21], v[22:23]
	s_wait_loadcnt_dscnt 0x0
	v_mul_f64_e32 v[24:25], v[16:17], v[20:21]
	s_wait_xcnt 0x0
	v_mul_f64_e32 v[22:23], v[14:15], v[20:21]
	v_mul_u64_e32 v[26:27], s[18:19], v[10:11]
	v_add_nc_u32_e32 v10, s23, v10
	s_delay_alu instid0(VALU_DEP_1)
	v_cmp_le_i32_e32 vcc_lo, s3, v10
	s_or_b32 s24, vcc_lo, s24
	v_fma_f64 v[20:21], v[14:15], v[18:19], -v[24:25]
	v_fmac_f64_e32 v[22:23], v[16:17], v[18:19]
	v_lshl_add_u64 v[14:15], v[26:27], 4, v[6:7]
	flat_store_b128 v[14:15], v[20:23]
	s_wait_xcnt 0x0
	s_and_not1_b32 exec_lo, exec_lo, s24
	s_cbranch_execnz .LBB29_5
	s_branch .LBB29_2
.LBB29_6:
	s_endpgm
	.section	.rodata,"a",@progbits
	.p2align	6, 0x0
	.amdhsa_kernel _ZL19rocblas_dgmm_kernelILi16ELi16ELb0EPKPK19rocblas_complex_numIdEPKPS1_EviiT2_lllS9_lllT3_llli
		.amdhsa_group_segment_fixed_size 0
		.amdhsa_private_segment_fixed_size 0
		.amdhsa_kernarg_size 368
		.amdhsa_user_sgpr_count 2
		.amdhsa_user_sgpr_dispatch_ptr 0
		.amdhsa_user_sgpr_queue_ptr 0
		.amdhsa_user_sgpr_kernarg_segment_ptr 1
		.amdhsa_user_sgpr_dispatch_id 0
		.amdhsa_user_sgpr_kernarg_preload_length 0
		.amdhsa_user_sgpr_kernarg_preload_offset 0
		.amdhsa_user_sgpr_private_segment_size 0
		.amdhsa_wavefront_size32 1
		.amdhsa_uses_dynamic_stack 0
		.amdhsa_enable_private_segment 0
		.amdhsa_system_sgpr_workgroup_id_x 1
		.amdhsa_system_sgpr_workgroup_id_y 1
		.amdhsa_system_sgpr_workgroup_id_z 1
		.amdhsa_system_sgpr_workgroup_info 0
		.amdhsa_system_vgpr_workitem_id 1
		.amdhsa_next_free_vgpr 28
		.amdhsa_next_free_sgpr 30
		.amdhsa_named_barrier_count 0
		.amdhsa_reserve_vcc 1
		.amdhsa_float_round_mode_32 0
		.amdhsa_float_round_mode_16_64 0
		.amdhsa_float_denorm_mode_32 3
		.amdhsa_float_denorm_mode_16_64 3
		.amdhsa_fp16_overflow 0
		.amdhsa_memory_ordered 1
		.amdhsa_forward_progress 1
		.amdhsa_inst_pref_size 5
		.amdhsa_round_robin_scheduling 0
		.amdhsa_exception_fp_ieee_invalid_op 0
		.amdhsa_exception_fp_denorm_src 0
		.amdhsa_exception_fp_ieee_div_zero 0
		.amdhsa_exception_fp_ieee_overflow 0
		.amdhsa_exception_fp_ieee_underflow 0
		.amdhsa_exception_fp_ieee_inexact 0
		.amdhsa_exception_int_div_zero 0
	.end_amdhsa_kernel
	.section	.text._ZL19rocblas_dgmm_kernelILi16ELi16ELb0EPKPK19rocblas_complex_numIdEPKPS1_EviiT2_lllS9_lllT3_llli,"axG",@progbits,_ZL19rocblas_dgmm_kernelILi16ELi16ELb0EPKPK19rocblas_complex_numIdEPKPS1_EviiT2_lllS9_lllT3_llli,comdat
.Lfunc_end29:
	.size	_ZL19rocblas_dgmm_kernelILi16ELi16ELb0EPKPK19rocblas_complex_numIdEPKPS1_EviiT2_lllS9_lllT3_llli, .Lfunc_end29-_ZL19rocblas_dgmm_kernelILi16ELi16ELb0EPKPK19rocblas_complex_numIdEPKPS1_EviiT2_lllS9_lllT3_llli
                                        ; -- End function
	.set _ZL19rocblas_dgmm_kernelILi16ELi16ELb0EPKPK19rocblas_complex_numIdEPKPS1_EviiT2_lllS9_lllT3_llli.num_vgpr, 28
	.set _ZL19rocblas_dgmm_kernelILi16ELi16ELb0EPKPK19rocblas_complex_numIdEPKPS1_EviiT2_lllS9_lllT3_llli.num_agpr, 0
	.set _ZL19rocblas_dgmm_kernelILi16ELi16ELb0EPKPK19rocblas_complex_numIdEPKPS1_EviiT2_lllS9_lllT3_llli.numbered_sgpr, 30
	.set _ZL19rocblas_dgmm_kernelILi16ELi16ELb0EPKPK19rocblas_complex_numIdEPKPS1_EviiT2_lllS9_lllT3_llli.num_named_barrier, 0
	.set _ZL19rocblas_dgmm_kernelILi16ELi16ELb0EPKPK19rocblas_complex_numIdEPKPS1_EviiT2_lllS9_lllT3_llli.private_seg_size, 0
	.set _ZL19rocblas_dgmm_kernelILi16ELi16ELb0EPKPK19rocblas_complex_numIdEPKPS1_EviiT2_lllS9_lllT3_llli.uses_vcc, 1
	.set _ZL19rocblas_dgmm_kernelILi16ELi16ELb0EPKPK19rocblas_complex_numIdEPKPS1_EviiT2_lllS9_lllT3_llli.uses_flat_scratch, 0
	.set _ZL19rocblas_dgmm_kernelILi16ELi16ELb0EPKPK19rocblas_complex_numIdEPKPS1_EviiT2_lllS9_lllT3_llli.has_dyn_sized_stack, 0
	.set _ZL19rocblas_dgmm_kernelILi16ELi16ELb0EPKPK19rocblas_complex_numIdEPKPS1_EviiT2_lllS9_lllT3_llli.has_recursion, 0
	.set _ZL19rocblas_dgmm_kernelILi16ELi16ELb0EPKPK19rocblas_complex_numIdEPKPS1_EviiT2_lllS9_lllT3_llli.has_indirect_call, 0
	.section	.AMDGPU.csdata,"",@progbits
; Kernel info:
; codeLenInByte = 540
; TotalNumSgprs: 32
; NumVgprs: 28
; ScratchSize: 0
; MemoryBound: 0
; FloatMode: 240
; IeeeMode: 1
; LDSByteSize: 0 bytes/workgroup (compile time only)
; SGPRBlocks: 0
; VGPRBlocks: 1
; NumSGPRsForWavesPerEU: 32
; NumVGPRsForWavesPerEU: 28
; NamedBarCnt: 0
; Occupancy: 16
; WaveLimiterHint : 1
; COMPUTE_PGM_RSRC2:SCRATCH_EN: 0
; COMPUTE_PGM_RSRC2:USER_SGPR: 2
; COMPUTE_PGM_RSRC2:TRAP_HANDLER: 0
; COMPUTE_PGM_RSRC2:TGID_X_EN: 1
; COMPUTE_PGM_RSRC2:TGID_Y_EN: 1
; COMPUTE_PGM_RSRC2:TGID_Z_EN: 1
; COMPUTE_PGM_RSRC2:TIDIG_COMP_CNT: 1
	.section	.text._ZL26rocblas_dgmm_gfx942_kernelILi32ELi32ELb1EPKPK19rocblas_complex_numIdEPKPS1_EviiT2_lllS9_lllT3_lll,"axG",@progbits,_ZL26rocblas_dgmm_gfx942_kernelILi32ELi32ELb1EPKPK19rocblas_complex_numIdEPKPS1_EviiT2_lllS9_lllT3_lll,comdat
	.globl	_ZL26rocblas_dgmm_gfx942_kernelILi32ELi32ELb1EPKPK19rocblas_complex_numIdEPKPS1_EviiT2_lllS9_lllT3_lll ; -- Begin function _ZL26rocblas_dgmm_gfx942_kernelILi32ELi32ELb1EPKPK19rocblas_complex_numIdEPKPS1_EviiT2_lllS9_lllT3_lll
	.p2align	8
	.type	_ZL26rocblas_dgmm_gfx942_kernelILi32ELi32ELb1EPKPK19rocblas_complex_numIdEPKPS1_EviiT2_lllS9_lllT3_lll,@function
_ZL26rocblas_dgmm_gfx942_kernelILi32ELi32ELb1EPKPK19rocblas_complex_numIdEPKPS1_EviiT2_lllS9_lllT3_lll: ; @_ZL26rocblas_dgmm_gfx942_kernelILi32ELi32ELb1EPKPK19rocblas_complex_numIdEPKPS1_EviiT2_lllS9_lllT3_lll
; %bb.0:
	s_endpgm
	.section	.rodata,"a",@progbits
	.p2align	6, 0x0
	.amdhsa_kernel _ZL26rocblas_dgmm_gfx942_kernelILi32ELi32ELb1EPKPK19rocblas_complex_numIdEPKPS1_EviiT2_lllS9_lllT3_lll
		.amdhsa_group_segment_fixed_size 0
		.amdhsa_private_segment_fixed_size 0
		.amdhsa_kernarg_size 104
		.amdhsa_user_sgpr_count 2
		.amdhsa_user_sgpr_dispatch_ptr 0
		.amdhsa_user_sgpr_queue_ptr 0
		.amdhsa_user_sgpr_kernarg_segment_ptr 1
		.amdhsa_user_sgpr_dispatch_id 0
		.amdhsa_user_sgpr_kernarg_preload_length 0
		.amdhsa_user_sgpr_kernarg_preload_offset 0
		.amdhsa_user_sgpr_private_segment_size 0
		.amdhsa_wavefront_size32 1
		.amdhsa_uses_dynamic_stack 0
		.amdhsa_enable_private_segment 0
		.amdhsa_system_sgpr_workgroup_id_x 1
		.amdhsa_system_sgpr_workgroup_id_y 0
		.amdhsa_system_sgpr_workgroup_id_z 0
		.amdhsa_system_sgpr_workgroup_info 0
		.amdhsa_system_vgpr_workitem_id 0
		.amdhsa_next_free_vgpr 1
		.amdhsa_next_free_sgpr 1
		.amdhsa_named_barrier_count 0
		.amdhsa_reserve_vcc 0
		.amdhsa_float_round_mode_32 0
		.amdhsa_float_round_mode_16_64 0
		.amdhsa_float_denorm_mode_32 3
		.amdhsa_float_denorm_mode_16_64 3
		.amdhsa_fp16_overflow 0
		.amdhsa_memory_ordered 1
		.amdhsa_forward_progress 1
		.amdhsa_inst_pref_size 1
		.amdhsa_round_robin_scheduling 0
		.amdhsa_exception_fp_ieee_invalid_op 0
		.amdhsa_exception_fp_denorm_src 0
		.amdhsa_exception_fp_ieee_div_zero 0
		.amdhsa_exception_fp_ieee_overflow 0
		.amdhsa_exception_fp_ieee_underflow 0
		.amdhsa_exception_fp_ieee_inexact 0
		.amdhsa_exception_int_div_zero 0
	.end_amdhsa_kernel
	.section	.text._ZL26rocblas_dgmm_gfx942_kernelILi32ELi32ELb1EPKPK19rocblas_complex_numIdEPKPS1_EviiT2_lllS9_lllT3_lll,"axG",@progbits,_ZL26rocblas_dgmm_gfx942_kernelILi32ELi32ELb1EPKPK19rocblas_complex_numIdEPKPS1_EviiT2_lllS9_lllT3_lll,comdat
.Lfunc_end30:
	.size	_ZL26rocblas_dgmm_gfx942_kernelILi32ELi32ELb1EPKPK19rocblas_complex_numIdEPKPS1_EviiT2_lllS9_lllT3_lll, .Lfunc_end30-_ZL26rocblas_dgmm_gfx942_kernelILi32ELi32ELb1EPKPK19rocblas_complex_numIdEPKPS1_EviiT2_lllS9_lllT3_lll
                                        ; -- End function
	.set _ZL26rocblas_dgmm_gfx942_kernelILi32ELi32ELb1EPKPK19rocblas_complex_numIdEPKPS1_EviiT2_lllS9_lllT3_lll.num_vgpr, 0
	.set _ZL26rocblas_dgmm_gfx942_kernelILi32ELi32ELb1EPKPK19rocblas_complex_numIdEPKPS1_EviiT2_lllS9_lllT3_lll.num_agpr, 0
	.set _ZL26rocblas_dgmm_gfx942_kernelILi32ELi32ELb1EPKPK19rocblas_complex_numIdEPKPS1_EviiT2_lllS9_lllT3_lll.numbered_sgpr, 0
	.set _ZL26rocblas_dgmm_gfx942_kernelILi32ELi32ELb1EPKPK19rocblas_complex_numIdEPKPS1_EviiT2_lllS9_lllT3_lll.num_named_barrier, 0
	.set _ZL26rocblas_dgmm_gfx942_kernelILi32ELi32ELb1EPKPK19rocblas_complex_numIdEPKPS1_EviiT2_lllS9_lllT3_lll.private_seg_size, 0
	.set _ZL26rocblas_dgmm_gfx942_kernelILi32ELi32ELb1EPKPK19rocblas_complex_numIdEPKPS1_EviiT2_lllS9_lllT3_lll.uses_vcc, 0
	.set _ZL26rocblas_dgmm_gfx942_kernelILi32ELi32ELb1EPKPK19rocblas_complex_numIdEPKPS1_EviiT2_lllS9_lllT3_lll.uses_flat_scratch, 0
	.set _ZL26rocblas_dgmm_gfx942_kernelILi32ELi32ELb1EPKPK19rocblas_complex_numIdEPKPS1_EviiT2_lllS9_lllT3_lll.has_dyn_sized_stack, 0
	.set _ZL26rocblas_dgmm_gfx942_kernelILi32ELi32ELb1EPKPK19rocblas_complex_numIdEPKPS1_EviiT2_lllS9_lllT3_lll.has_recursion, 0
	.set _ZL26rocblas_dgmm_gfx942_kernelILi32ELi32ELb1EPKPK19rocblas_complex_numIdEPKPS1_EviiT2_lllS9_lllT3_lll.has_indirect_call, 0
	.section	.AMDGPU.csdata,"",@progbits
; Kernel info:
; codeLenInByte = 4
; TotalNumSgprs: 0
; NumVgprs: 0
; ScratchSize: 0
; MemoryBound: 0
; FloatMode: 240
; IeeeMode: 1
; LDSByteSize: 0 bytes/workgroup (compile time only)
; SGPRBlocks: 0
; VGPRBlocks: 0
; NumSGPRsForWavesPerEU: 1
; NumVGPRsForWavesPerEU: 1
; NamedBarCnt: 0
; Occupancy: 16
; WaveLimiterHint : 0
; COMPUTE_PGM_RSRC2:SCRATCH_EN: 0
; COMPUTE_PGM_RSRC2:USER_SGPR: 2
; COMPUTE_PGM_RSRC2:TRAP_HANDLER: 0
; COMPUTE_PGM_RSRC2:TGID_X_EN: 1
; COMPUTE_PGM_RSRC2:TGID_Y_EN: 0
; COMPUTE_PGM_RSRC2:TGID_Z_EN: 0
; COMPUTE_PGM_RSRC2:TIDIG_COMP_CNT: 0
	.section	.text._ZL19rocblas_dgmm_kernelILi16ELi16ELb1EPKPK19rocblas_complex_numIdEPKPS1_EviiT2_lllS9_lllT3_llli,"axG",@progbits,_ZL19rocblas_dgmm_kernelILi16ELi16ELb1EPKPK19rocblas_complex_numIdEPKPS1_EviiT2_lllS9_lllT3_llli,comdat
	.globl	_ZL19rocblas_dgmm_kernelILi16ELi16ELb1EPKPK19rocblas_complex_numIdEPKPS1_EviiT2_lllS9_lllT3_llli ; -- Begin function _ZL19rocblas_dgmm_kernelILi16ELi16ELb1EPKPK19rocblas_complex_numIdEPKPS1_EviiT2_lllS9_lllT3_llli
	.p2align	8
	.type	_ZL19rocblas_dgmm_kernelILi16ELi16ELb1EPKPK19rocblas_complex_numIdEPKPS1_EviiT2_lllS9_lllT3_llli,@function
_ZL19rocblas_dgmm_kernelILi16ELi16ELb1EPKPK19rocblas_complex_numIdEPKPS1_EviiT2_lllS9_lllT3_llli: ; @_ZL19rocblas_dgmm_kernelILi16ELi16ELb1EPKPK19rocblas_complex_numIdEPKPS1_EviiT2_lllS9_lllT3_llli
; %bb.0:
	s_load_b32 s24, s[0:1], 0x68
	s_bfe_u32 s2, ttmp6, 0x40014
	s_lshr_b32 s3, ttmp7, 16
	s_add_co_i32 s2, s2, 1
	s_bfe_u32 s4, ttmp6, 0x40008
	s_mul_i32 s2, s3, s2
	s_getreg_b32 s12, hwreg(HW_REG_IB_STS2, 6, 4)
	s_add_co_i32 s4, s4, s2
	s_cmp_eq_u32 s12, 0
	s_cselect_b32 s25, s3, s4
	s_wait_kmcnt 0x0
	s_cmp_ge_u32 s25, s24
	s_cbranch_scc1 .LBB31_6
; %bb.1:
	s_bfe_u32 s8, ttmp6, 0x40010
	s_bfe_u32 s14, ttmp6, 0x4000c
	s_and_b32 s22, ttmp7, 0xffff
	s_add_co_i32 s13, s8, 1
	s_add_co_i32 s14, s14, 1
	s_clause 0x1
	s_load_b64 s[2:3], s[0:1], 0x0
	s_load_b128 s[4:7], s[0:1], 0x8
	s_mul_i32 s13, s22, s13
	s_bfe_u32 s15, ttmp6, 0x40004
	s_and_b32 s18, ttmp6, 15
	s_mul_i32 s14, ttmp9, s14
	s_add_co_i32 s23, s15, s13
	s_add_co_i32 s20, s18, s14
	s_clause 0x1
	s_load_b64 s[16:17], s[0:1], 0x18
	s_load_b128 s[8:11], s[0:1], 0x28
	s_cmp_eq_u32 s12, 0
	v_and_b32_e32 v1, 0x3ff, v0
	s_clause 0x1
	s_load_b64 s[18:19], s[0:1], 0x38
	s_load_b128 s[12:15], s[0:1], 0x48
	s_cselect_b32 s26, ttmp9, s20
	s_load_b64 s[20:21], s[0:1], 0x58
	v_bfe_u32 v2, v0, 10, 10
	v_lshl_add_u32 v0, s26, 4, v1
	s_cselect_b32 s22, s22, s23
	s_wait_xcnt 0x0
	s_add_nc_u64 s[0:1], s[0:1], 0x70
	v_lshl_add_u32 v8, s22, 4, v2
	v_ashrrev_i32_e32 v1, 31, v0
	s_wait_kmcnt 0x0
	v_cmp_gt_i32_e32 vcc_lo, s2, v0
	s_lshl_b64 s[6:7], s[6:7], 4
	v_cmp_gt_i32_e64 s2, s3, v8
	v_lshlrev_b64_e32 v[0:1], 4, v[0:1]
	s_lshl_b64 s[10:11], s[10:11], 4
	s_and_b32 s2, vcc_lo, s2
	s_lshl_b64 s[14:15], s[14:15], 4
	s_branch .LBB31_3
.LBB31_2:                               ;   in Loop: Header=BB31_3 Depth=1
	s_or_b32 exec_lo, exec_lo, s26
	s_add_co_i32 s25, s25, 0x10000
	s_delay_alu instid0(SALU_CYCLE_1)
	s_cmp_ge_u32 s25, s24
	s_cbranch_scc1 .LBB31_6
.LBB31_3:                               ; =>This Loop Header: Depth=1
                                        ;     Child Loop BB31_5 Depth 2
	s_and_saveexec_b32 s26, s2
	s_cbranch_execz .LBB31_2
; %bb.4:                                ;   in Loop: Header=BB31_3 Depth=1
	s_load_b64 s[22:23], s[4:5], s25 offset:0x0 scale_offset
	s_load_b64 s[28:29], s[12:13], s25 offset:0x0 scale_offset
	;; [unrolled: 1-line block ×3, first 2 shown]
	s_load_b32 s27, s[0:1], 0x4
	v_mov_b32_e32 v6, v8
	s_wait_kmcnt 0x0
	s_add_nc_u64 s[22:23], s[22:23], s[6:7]
	s_add_nc_u64 s[28:29], s[28:29], s[14:15]
	v_add_nc_u64_e32 v[2:3], s[22:23], v[0:1]
	v_add_nc_u64_e32 v[4:5], s[28:29], v[0:1]
	s_add_nc_u64 s[22:23], s[30:31], s[10:11]
	s_lshl_b32 s27, s27, 4
	s_mov_b32 s28, 0
.LBB31_5:                               ;   Parent Loop BB31_3 Depth=1
                                        ; =>  This Inner Loop Header: Depth=2
	v_ashrrev_i32_e32 v7, 31, v6
	s_delay_alu instid0(VALU_DEP_1) | instskip(SKIP_1) | instid1(VALU_DEP_2)
	v_mul_u64_e32 v[10:11], s[18:19], v[6:7]
	v_mul_u64_e32 v[12:13], s[16:17], v[6:7]
	v_lshl_add_u64 v[18:19], v[10:11], 4, s[22:23]
	s_delay_alu instid0(VALU_DEP_2)
	v_lshl_add_u64 v[20:21], v[12:13], 4, v[2:3]
	flat_load_b128 v[10:13], v[18:19]
	flat_load_b128 v[14:17], v[20:21]
	s_wait_loadcnt_dscnt 0x0
	s_wait_xcnt 0x0
	v_mul_f64_e32 v[20:21], v[12:13], v[16:17]
	v_mul_f64_e32 v[18:19], v[10:11], v[16:17]
	v_mul_u64_e32 v[22:23], s[20:21], v[6:7]
	v_add_nc_u32_e32 v6, s27, v6
	s_delay_alu instid0(VALU_DEP_1)
	v_cmp_le_i32_e32 vcc_lo, s3, v6
	s_or_b32 s28, vcc_lo, s28
	v_fma_f64 v[16:17], v[10:11], v[14:15], -v[20:21]
	v_fmac_f64_e32 v[18:19], v[12:13], v[14:15]
	v_lshl_add_u64 v[10:11], v[22:23], 4, v[4:5]
	flat_store_b128 v[10:11], v[16:19]
	s_wait_xcnt 0x0
	s_and_not1_b32 exec_lo, exec_lo, s28
	s_cbranch_execnz .LBB31_5
	s_branch .LBB31_2
.LBB31_6:
	s_endpgm
	.section	.rodata,"a",@progbits
	.p2align	6, 0x0
	.amdhsa_kernel _ZL19rocblas_dgmm_kernelILi16ELi16ELb1EPKPK19rocblas_complex_numIdEPKPS1_EviiT2_lllS9_lllT3_llli
		.amdhsa_group_segment_fixed_size 0
		.amdhsa_private_segment_fixed_size 0
		.amdhsa_kernarg_size 368
		.amdhsa_user_sgpr_count 2
		.amdhsa_user_sgpr_dispatch_ptr 0
		.amdhsa_user_sgpr_queue_ptr 0
		.amdhsa_user_sgpr_kernarg_segment_ptr 1
		.amdhsa_user_sgpr_dispatch_id 0
		.amdhsa_user_sgpr_kernarg_preload_length 0
		.amdhsa_user_sgpr_kernarg_preload_offset 0
		.amdhsa_user_sgpr_private_segment_size 0
		.amdhsa_wavefront_size32 1
		.amdhsa_uses_dynamic_stack 0
		.amdhsa_enable_private_segment 0
		.amdhsa_system_sgpr_workgroup_id_x 1
		.amdhsa_system_sgpr_workgroup_id_y 1
		.amdhsa_system_sgpr_workgroup_id_z 1
		.amdhsa_system_sgpr_workgroup_info 0
		.amdhsa_system_vgpr_workitem_id 1
		.amdhsa_next_free_vgpr 24
		.amdhsa_next_free_sgpr 32
		.amdhsa_named_barrier_count 0
		.amdhsa_reserve_vcc 1
		.amdhsa_float_round_mode_32 0
		.amdhsa_float_round_mode_16_64 0
		.amdhsa_float_denorm_mode_32 3
		.amdhsa_float_denorm_mode_16_64 3
		.amdhsa_fp16_overflow 0
		.amdhsa_memory_ordered 1
		.amdhsa_forward_progress 1
		.amdhsa_inst_pref_size 5
		.amdhsa_round_robin_scheduling 0
		.amdhsa_exception_fp_ieee_invalid_op 0
		.amdhsa_exception_fp_denorm_src 0
		.amdhsa_exception_fp_ieee_div_zero 0
		.amdhsa_exception_fp_ieee_overflow 0
		.amdhsa_exception_fp_ieee_underflow 0
		.amdhsa_exception_fp_ieee_inexact 0
		.amdhsa_exception_int_div_zero 0
	.end_amdhsa_kernel
	.section	.text._ZL19rocblas_dgmm_kernelILi16ELi16ELb1EPKPK19rocblas_complex_numIdEPKPS1_EviiT2_lllS9_lllT3_llli,"axG",@progbits,_ZL19rocblas_dgmm_kernelILi16ELi16ELb1EPKPK19rocblas_complex_numIdEPKPS1_EviiT2_lllS9_lllT3_llli,comdat
.Lfunc_end31:
	.size	_ZL19rocblas_dgmm_kernelILi16ELi16ELb1EPKPK19rocblas_complex_numIdEPKPS1_EviiT2_lllS9_lllT3_llli, .Lfunc_end31-_ZL19rocblas_dgmm_kernelILi16ELi16ELb1EPKPK19rocblas_complex_numIdEPKPS1_EviiT2_lllS9_lllT3_llli
                                        ; -- End function
	.set _ZL19rocblas_dgmm_kernelILi16ELi16ELb1EPKPK19rocblas_complex_numIdEPKPS1_EviiT2_lllS9_lllT3_llli.num_vgpr, 24
	.set _ZL19rocblas_dgmm_kernelILi16ELi16ELb1EPKPK19rocblas_complex_numIdEPKPS1_EviiT2_lllS9_lllT3_llli.num_agpr, 0
	.set _ZL19rocblas_dgmm_kernelILi16ELi16ELb1EPKPK19rocblas_complex_numIdEPKPS1_EviiT2_lllS9_lllT3_llli.numbered_sgpr, 32
	.set _ZL19rocblas_dgmm_kernelILi16ELi16ELb1EPKPK19rocblas_complex_numIdEPKPS1_EviiT2_lllS9_lllT3_llli.num_named_barrier, 0
	.set _ZL19rocblas_dgmm_kernelILi16ELi16ELb1EPKPK19rocblas_complex_numIdEPKPS1_EviiT2_lllS9_lllT3_llli.private_seg_size, 0
	.set _ZL19rocblas_dgmm_kernelILi16ELi16ELb1EPKPK19rocblas_complex_numIdEPKPS1_EviiT2_lllS9_lllT3_llli.uses_vcc, 1
	.set _ZL19rocblas_dgmm_kernelILi16ELi16ELb1EPKPK19rocblas_complex_numIdEPKPS1_EviiT2_lllS9_lllT3_llli.uses_flat_scratch, 0
	.set _ZL19rocblas_dgmm_kernelILi16ELi16ELb1EPKPK19rocblas_complex_numIdEPKPS1_EviiT2_lllS9_lllT3_llli.has_dyn_sized_stack, 0
	.set _ZL19rocblas_dgmm_kernelILi16ELi16ELb1EPKPK19rocblas_complex_numIdEPKPS1_EviiT2_lllS9_lllT3_llli.has_recursion, 0
	.set _ZL19rocblas_dgmm_kernelILi16ELi16ELb1EPKPK19rocblas_complex_numIdEPKPS1_EviiT2_lllS9_lllT3_llli.has_indirect_call, 0
	.section	.AMDGPU.csdata,"",@progbits
; Kernel info:
; codeLenInByte = 540
; TotalNumSgprs: 34
; NumVgprs: 24
; ScratchSize: 0
; MemoryBound: 0
; FloatMode: 240
; IeeeMode: 1
; LDSByteSize: 0 bytes/workgroup (compile time only)
; SGPRBlocks: 0
; VGPRBlocks: 1
; NumSGPRsForWavesPerEU: 34
; NumVGPRsForWavesPerEU: 24
; NamedBarCnt: 0
; Occupancy: 16
; WaveLimiterHint : 1
; COMPUTE_PGM_RSRC2:SCRATCH_EN: 0
; COMPUTE_PGM_RSRC2:USER_SGPR: 2
; COMPUTE_PGM_RSRC2:TRAP_HANDLER: 0
; COMPUTE_PGM_RSRC2:TGID_X_EN: 1
; COMPUTE_PGM_RSRC2:TGID_Y_EN: 1
; COMPUTE_PGM_RSRC2:TGID_Z_EN: 1
; COMPUTE_PGM_RSRC2:TIDIG_COMP_CNT: 1
	.section	.AMDGPU.gpr_maximums,"",@progbits
	.set amdgpu.max_num_vgpr, 0
	.set amdgpu.max_num_agpr, 0
	.set amdgpu.max_num_sgpr, 0
	.section	.AMDGPU.csdata,"",@progbits
	.type	__hip_cuid_24204060f6e126c9,@object ; @__hip_cuid_24204060f6e126c9
	.section	.bss,"aw",@nobits
	.globl	__hip_cuid_24204060f6e126c9
__hip_cuid_24204060f6e126c9:
	.byte	0                               ; 0x0
	.size	__hip_cuid_24204060f6e126c9, 1

	.ident	"AMD clang version 22.0.0git (https://github.com/RadeonOpenCompute/llvm-project roc-7.2.4 26084 f58b06dce1f9c15707c5f808fd002e18c2accf7e)"
	.section	".note.GNU-stack","",@progbits
	.addrsig
	.addrsig_sym __hip_cuid_24204060f6e126c9
	.amdgpu_metadata
---
amdhsa.kernels:
  - .args:
      - .offset:         0
        .size:           4
        .value_kind:     by_value
      - .offset:         4
        .size:           4
        .value_kind:     by_value
      - .address_space:  global
        .offset:         8
        .size:           8
        .value_kind:     global_buffer
      - .offset:         16
        .size:           8
        .value_kind:     by_value
      - .offset:         24
        .size:           8
        .value_kind:     by_value
      - .offset:         32
        .size:           8
        .value_kind:     by_value
      - .address_space:  global
        .offset:         40
        .size:           8
        .value_kind:     global_buffer
      - .offset:         48
        .size:           8
        .value_kind:     by_value
      - .offset:         56
        .size:           8
        .value_kind:     by_value
      - .offset:         64
        .size:           8
        .value_kind:     by_value
      - .address_space:  global
        .offset:         72
        .size:           8
        .value_kind:     global_buffer
      - .offset:         80
        .size:           8
        .value_kind:     by_value
      - .offset:         88
        .size:           8
        .value_kind:     by_value
      - .offset:         96
        .size:           8
        .value_kind:     by_value
    .group_segment_fixed_size: 0
    .kernarg_segment_align: 8
    .kernarg_segment_size: 104
    .language:       OpenCL C
    .language_version:
      - 2
      - 0
    .max_flat_workgroup_size: 1024
    .name:           _ZL26rocblas_dgmm_gfx942_kernelILi32ELi32ELb0EPKfPfEviiT2_lllS3_lllT3_lll
    .private_segment_fixed_size: 0
    .sgpr_count:     0
    .sgpr_spill_count: 0
    .symbol:         _ZL26rocblas_dgmm_gfx942_kernelILi32ELi32ELb0EPKfPfEviiT2_lllS3_lllT3_lll.kd
    .uniform_work_group_size: 1
    .uses_dynamic_stack: false
    .vgpr_count:     0
    .vgpr_spill_count: 0
    .wavefront_size: 32
  - .args:
      - .offset:         0
        .size:           4
        .value_kind:     by_value
      - .offset:         4
        .size:           4
        .value_kind:     by_value
      - .address_space:  global
        .offset:         8
        .size:           8
        .value_kind:     global_buffer
      - .offset:         16
        .size:           8
        .value_kind:     by_value
      - .offset:         24
        .size:           8
        .value_kind:     by_value
      - .offset:         32
        .size:           8
        .value_kind:     by_value
      - .address_space:  global
        .offset:         40
        .size:           8
        .value_kind:     global_buffer
      - .offset:         48
        .size:           8
        .value_kind:     by_value
      - .offset:         56
        .size:           8
        .value_kind:     by_value
      - .offset:         64
        .size:           8
        .value_kind:     by_value
      - .address_space:  global
        .offset:         72
        .size:           8
        .value_kind:     global_buffer
      - .offset:         80
        .size:           8
        .value_kind:     by_value
      - .offset:         88
        .size:           8
        .value_kind:     by_value
      - .offset:         96
        .size:           8
        .value_kind:     by_value
      - .offset:         104
        .size:           4
        .value_kind:     by_value
      - .offset:         112
        .size:           4
        .value_kind:     hidden_block_count_x
      - .offset:         116
        .size:           4
        .value_kind:     hidden_block_count_y
      - .offset:         120
        .size:           4
        .value_kind:     hidden_block_count_z
      - .offset:         124
        .size:           2
        .value_kind:     hidden_group_size_x
      - .offset:         126
        .size:           2
        .value_kind:     hidden_group_size_y
      - .offset:         128
        .size:           2
        .value_kind:     hidden_group_size_z
      - .offset:         130
        .size:           2
        .value_kind:     hidden_remainder_x
      - .offset:         132
        .size:           2
        .value_kind:     hidden_remainder_y
      - .offset:         134
        .size:           2
        .value_kind:     hidden_remainder_z
      - .offset:         152
        .size:           8
        .value_kind:     hidden_global_offset_x
      - .offset:         160
        .size:           8
        .value_kind:     hidden_global_offset_y
      - .offset:         168
        .size:           8
        .value_kind:     hidden_global_offset_z
      - .offset:         176
        .size:           2
        .value_kind:     hidden_grid_dims
    .group_segment_fixed_size: 0
    .kernarg_segment_align: 8
    .kernarg_segment_size: 368
    .language:       OpenCL C
    .language_version:
      - 2
      - 0
    .max_flat_workgroup_size: 256
    .name:           _ZL19rocblas_dgmm_kernelILi16ELi16ELb0EPKfPfEviiT2_lllS3_lllT3_llli
    .private_segment_fixed_size: 0
    .sgpr_count:     36
    .sgpr_spill_count: 0
    .symbol:         _ZL19rocblas_dgmm_kernelILi16ELi16ELb0EPKfPfEviiT2_lllS3_lllT3_llli.kd
    .uniform_work_group_size: 1
    .uses_dynamic_stack: false
    .vgpr_count:     19
    .vgpr_spill_count: 0
    .wavefront_size: 32
  - .args:
      - .offset:         0
        .size:           4
        .value_kind:     by_value
      - .offset:         4
        .size:           4
        .value_kind:     by_value
      - .address_space:  global
        .offset:         8
        .size:           8
        .value_kind:     global_buffer
      - .offset:         16
        .size:           8
        .value_kind:     by_value
      - .offset:         24
        .size:           8
        .value_kind:     by_value
      - .offset:         32
        .size:           8
        .value_kind:     by_value
      - .address_space:  global
        .offset:         40
        .size:           8
        .value_kind:     global_buffer
      - .offset:         48
        .size:           8
        .value_kind:     by_value
      - .offset:         56
        .size:           8
        .value_kind:     by_value
      - .offset:         64
        .size:           8
        .value_kind:     by_value
      - .address_space:  global
        .offset:         72
        .size:           8
        .value_kind:     global_buffer
      - .offset:         80
        .size:           8
        .value_kind:     by_value
      - .offset:         88
        .size:           8
        .value_kind:     by_value
      - .offset:         96
        .size:           8
        .value_kind:     by_value
    .group_segment_fixed_size: 0
    .kernarg_segment_align: 8
    .kernarg_segment_size: 104
    .language:       OpenCL C
    .language_version:
      - 2
      - 0
    .max_flat_workgroup_size: 1024
    .name:           _ZL26rocblas_dgmm_gfx942_kernelILi32ELi32ELb1EPKfPfEviiT2_lllS3_lllT3_lll
    .private_segment_fixed_size: 0
    .sgpr_count:     0
    .sgpr_spill_count: 0
    .symbol:         _ZL26rocblas_dgmm_gfx942_kernelILi32ELi32ELb1EPKfPfEviiT2_lllS3_lllT3_lll.kd
    .uniform_work_group_size: 1
    .uses_dynamic_stack: false
    .vgpr_count:     0
    .vgpr_spill_count: 0
    .wavefront_size: 32
  - .args:
      - .offset:         0
        .size:           4
        .value_kind:     by_value
      - .offset:         4
        .size:           4
        .value_kind:     by_value
      - .address_space:  global
        .offset:         8
        .size:           8
        .value_kind:     global_buffer
      - .offset:         16
        .size:           8
        .value_kind:     by_value
      - .offset:         24
        .size:           8
        .value_kind:     by_value
      - .offset:         32
        .size:           8
        .value_kind:     by_value
      - .address_space:  global
        .offset:         40
        .size:           8
        .value_kind:     global_buffer
      - .offset:         48
        .size:           8
        .value_kind:     by_value
      - .offset:         56
        .size:           8
        .value_kind:     by_value
      - .offset:         64
        .size:           8
        .value_kind:     by_value
      - .address_space:  global
        .offset:         72
        .size:           8
        .value_kind:     global_buffer
      - .offset:         80
        .size:           8
        .value_kind:     by_value
      - .offset:         88
        .size:           8
        .value_kind:     by_value
      - .offset:         96
        .size:           8
        .value_kind:     by_value
      - .offset:         104
        .size:           4
        .value_kind:     by_value
      - .offset:         112
        .size:           4
        .value_kind:     hidden_block_count_x
      - .offset:         116
        .size:           4
        .value_kind:     hidden_block_count_y
      - .offset:         120
        .size:           4
        .value_kind:     hidden_block_count_z
      - .offset:         124
        .size:           2
        .value_kind:     hidden_group_size_x
      - .offset:         126
        .size:           2
        .value_kind:     hidden_group_size_y
      - .offset:         128
        .size:           2
        .value_kind:     hidden_group_size_z
      - .offset:         130
        .size:           2
        .value_kind:     hidden_remainder_x
      - .offset:         132
        .size:           2
        .value_kind:     hidden_remainder_y
      - .offset:         134
        .size:           2
        .value_kind:     hidden_remainder_z
      - .offset:         152
        .size:           8
        .value_kind:     hidden_global_offset_x
      - .offset:         160
        .size:           8
        .value_kind:     hidden_global_offset_y
      - .offset:         168
        .size:           8
        .value_kind:     hidden_global_offset_z
      - .offset:         176
        .size:           2
        .value_kind:     hidden_grid_dims
    .group_segment_fixed_size: 0
    .kernarg_segment_align: 8
    .kernarg_segment_size: 368
    .language:       OpenCL C
    .language_version:
      - 2
      - 0
    .max_flat_workgroup_size: 256
    .name:           _ZL19rocblas_dgmm_kernelILi16ELi16ELb1EPKfPfEviiT2_lllS3_lllT3_llli
    .private_segment_fixed_size: 0
    .sgpr_count:     40
    .sgpr_spill_count: 0
    .symbol:         _ZL19rocblas_dgmm_kernelILi16ELi16ELb1EPKfPfEviiT2_lllS3_lllT3_llli.kd
    .uniform_work_group_size: 1
    .uses_dynamic_stack: false
    .vgpr_count:     17
    .vgpr_spill_count: 0
    .wavefront_size: 32
  - .args:
      - .offset:         0
        .size:           4
        .value_kind:     by_value
      - .offset:         4
        .size:           4
        .value_kind:     by_value
      - .address_space:  global
        .offset:         8
        .size:           8
        .value_kind:     global_buffer
      - .offset:         16
        .size:           8
        .value_kind:     by_value
      - .offset:         24
        .size:           8
        .value_kind:     by_value
      - .offset:         32
        .size:           8
        .value_kind:     by_value
      - .address_space:  global
        .offset:         40
        .size:           8
        .value_kind:     global_buffer
      - .offset:         48
        .size:           8
        .value_kind:     by_value
      - .offset:         56
        .size:           8
        .value_kind:     by_value
      - .offset:         64
        .size:           8
        .value_kind:     by_value
      - .address_space:  global
        .offset:         72
        .size:           8
        .value_kind:     global_buffer
      - .offset:         80
        .size:           8
        .value_kind:     by_value
      - .offset:         88
        .size:           8
        .value_kind:     by_value
      - .offset:         96
        .size:           8
        .value_kind:     by_value
    .group_segment_fixed_size: 0
    .kernarg_segment_align: 8
    .kernarg_segment_size: 104
    .language:       OpenCL C
    .language_version:
      - 2
      - 0
    .max_flat_workgroup_size: 1024
    .name:           _ZL26rocblas_dgmm_gfx942_kernelILi32ELi32ELb0EPKdPdEviiT2_lllS3_lllT3_lll
    .private_segment_fixed_size: 0
    .sgpr_count:     0
    .sgpr_spill_count: 0
    .symbol:         _ZL26rocblas_dgmm_gfx942_kernelILi32ELi32ELb0EPKdPdEviiT2_lllS3_lllT3_lll.kd
    .uniform_work_group_size: 1
    .uses_dynamic_stack: false
    .vgpr_count:     0
    .vgpr_spill_count: 0
    .wavefront_size: 32
  - .args:
      - .offset:         0
        .size:           4
        .value_kind:     by_value
      - .offset:         4
        .size:           4
        .value_kind:     by_value
      - .address_space:  global
        .offset:         8
        .size:           8
        .value_kind:     global_buffer
      - .offset:         16
        .size:           8
        .value_kind:     by_value
      - .offset:         24
        .size:           8
        .value_kind:     by_value
      - .offset:         32
        .size:           8
        .value_kind:     by_value
      - .address_space:  global
        .offset:         40
        .size:           8
        .value_kind:     global_buffer
      - .offset:         48
        .size:           8
        .value_kind:     by_value
      - .offset:         56
        .size:           8
        .value_kind:     by_value
      - .offset:         64
        .size:           8
        .value_kind:     by_value
      - .address_space:  global
        .offset:         72
        .size:           8
        .value_kind:     global_buffer
      - .offset:         80
        .size:           8
        .value_kind:     by_value
      - .offset:         88
        .size:           8
        .value_kind:     by_value
      - .offset:         96
        .size:           8
        .value_kind:     by_value
      - .offset:         104
        .size:           4
        .value_kind:     by_value
      - .offset:         112
        .size:           4
        .value_kind:     hidden_block_count_x
      - .offset:         116
        .size:           4
        .value_kind:     hidden_block_count_y
      - .offset:         120
        .size:           4
        .value_kind:     hidden_block_count_z
      - .offset:         124
        .size:           2
        .value_kind:     hidden_group_size_x
      - .offset:         126
        .size:           2
        .value_kind:     hidden_group_size_y
      - .offset:         128
        .size:           2
        .value_kind:     hidden_group_size_z
      - .offset:         130
        .size:           2
        .value_kind:     hidden_remainder_x
      - .offset:         132
        .size:           2
        .value_kind:     hidden_remainder_y
      - .offset:         134
        .size:           2
        .value_kind:     hidden_remainder_z
      - .offset:         152
        .size:           8
        .value_kind:     hidden_global_offset_x
      - .offset:         160
        .size:           8
        .value_kind:     hidden_global_offset_y
      - .offset:         168
        .size:           8
        .value_kind:     hidden_global_offset_z
      - .offset:         176
        .size:           2
        .value_kind:     hidden_grid_dims
    .group_segment_fixed_size: 0
    .kernarg_segment_align: 8
    .kernarg_segment_size: 368
    .language:       OpenCL C
    .language_version:
      - 2
      - 0
    .max_flat_workgroup_size: 256
    .name:           _ZL19rocblas_dgmm_kernelILi16ELi16ELb0EPKdPdEviiT2_lllS3_lllT3_llli
    .private_segment_fixed_size: 0
    .sgpr_count:     36
    .sgpr_spill_count: 0
    .symbol:         _ZL19rocblas_dgmm_kernelILi16ELi16ELb0EPKdPdEviiT2_lllS3_lllT3_llli.kd
    .uniform_work_group_size: 1
    .uses_dynamic_stack: false
    .vgpr_count:     22
    .vgpr_spill_count: 0
    .wavefront_size: 32
  - .args:
      - .offset:         0
        .size:           4
        .value_kind:     by_value
      - .offset:         4
        .size:           4
        .value_kind:     by_value
      - .address_space:  global
        .offset:         8
        .size:           8
        .value_kind:     global_buffer
      - .offset:         16
        .size:           8
        .value_kind:     by_value
      - .offset:         24
        .size:           8
        .value_kind:     by_value
      - .offset:         32
        .size:           8
        .value_kind:     by_value
      - .address_space:  global
        .offset:         40
        .size:           8
        .value_kind:     global_buffer
      - .offset:         48
        .size:           8
        .value_kind:     by_value
      - .offset:         56
        .size:           8
        .value_kind:     by_value
      - .offset:         64
        .size:           8
        .value_kind:     by_value
      - .address_space:  global
        .offset:         72
        .size:           8
        .value_kind:     global_buffer
      - .offset:         80
        .size:           8
        .value_kind:     by_value
      - .offset:         88
        .size:           8
        .value_kind:     by_value
      - .offset:         96
        .size:           8
        .value_kind:     by_value
    .group_segment_fixed_size: 0
    .kernarg_segment_align: 8
    .kernarg_segment_size: 104
    .language:       OpenCL C
    .language_version:
      - 2
      - 0
    .max_flat_workgroup_size: 1024
    .name:           _ZL26rocblas_dgmm_gfx942_kernelILi32ELi32ELb1EPKdPdEviiT2_lllS3_lllT3_lll
    .private_segment_fixed_size: 0
    .sgpr_count:     0
    .sgpr_spill_count: 0
    .symbol:         _ZL26rocblas_dgmm_gfx942_kernelILi32ELi32ELb1EPKdPdEviiT2_lllS3_lllT3_lll.kd
    .uniform_work_group_size: 1
    .uses_dynamic_stack: false
    .vgpr_count:     0
    .vgpr_spill_count: 0
    .wavefront_size: 32
  - .args:
      - .offset:         0
        .size:           4
        .value_kind:     by_value
      - .offset:         4
        .size:           4
        .value_kind:     by_value
      - .address_space:  global
        .offset:         8
        .size:           8
        .value_kind:     global_buffer
      - .offset:         16
        .size:           8
        .value_kind:     by_value
      - .offset:         24
        .size:           8
        .value_kind:     by_value
      - .offset:         32
        .size:           8
        .value_kind:     by_value
      - .address_space:  global
        .offset:         40
        .size:           8
        .value_kind:     global_buffer
      - .offset:         48
        .size:           8
        .value_kind:     by_value
      - .offset:         56
        .size:           8
        .value_kind:     by_value
      - .offset:         64
        .size:           8
        .value_kind:     by_value
      - .address_space:  global
        .offset:         72
        .size:           8
        .value_kind:     global_buffer
      - .offset:         80
        .size:           8
        .value_kind:     by_value
      - .offset:         88
        .size:           8
        .value_kind:     by_value
      - .offset:         96
        .size:           8
        .value_kind:     by_value
      - .offset:         104
        .size:           4
        .value_kind:     by_value
      - .offset:         112
        .size:           4
        .value_kind:     hidden_block_count_x
      - .offset:         116
        .size:           4
        .value_kind:     hidden_block_count_y
      - .offset:         120
        .size:           4
        .value_kind:     hidden_block_count_z
      - .offset:         124
        .size:           2
        .value_kind:     hidden_group_size_x
      - .offset:         126
        .size:           2
        .value_kind:     hidden_group_size_y
      - .offset:         128
        .size:           2
        .value_kind:     hidden_group_size_z
      - .offset:         130
        .size:           2
        .value_kind:     hidden_remainder_x
      - .offset:         132
        .size:           2
        .value_kind:     hidden_remainder_y
      - .offset:         134
        .size:           2
        .value_kind:     hidden_remainder_z
      - .offset:         152
        .size:           8
        .value_kind:     hidden_global_offset_x
      - .offset:         160
        .size:           8
        .value_kind:     hidden_global_offset_y
      - .offset:         168
        .size:           8
        .value_kind:     hidden_global_offset_z
      - .offset:         176
        .size:           2
        .value_kind:     hidden_grid_dims
    .group_segment_fixed_size: 0
    .kernarg_segment_align: 8
    .kernarg_segment_size: 368
    .language:       OpenCL C
    .language_version:
      - 2
      - 0
    .max_flat_workgroup_size: 256
    .name:           _ZL19rocblas_dgmm_kernelILi16ELi16ELb1EPKdPdEviiT2_lllS3_lllT3_llli
    .private_segment_fixed_size: 0
    .sgpr_count:     40
    .sgpr_spill_count: 0
    .symbol:         _ZL19rocblas_dgmm_kernelILi16ELi16ELb1EPKdPdEviiT2_lllS3_lllT3_llli.kd
    .uniform_work_group_size: 1
    .uses_dynamic_stack: false
    .vgpr_count:     20
    .vgpr_spill_count: 0
    .wavefront_size: 32
  - .args:
      - .offset:         0
        .size:           4
        .value_kind:     by_value
      - .offset:         4
        .size:           4
        .value_kind:     by_value
      - .address_space:  global
        .offset:         8
        .size:           8
        .value_kind:     global_buffer
      - .offset:         16
        .size:           8
        .value_kind:     by_value
      - .offset:         24
        .size:           8
        .value_kind:     by_value
      - .offset:         32
        .size:           8
        .value_kind:     by_value
      - .address_space:  global
        .offset:         40
        .size:           8
        .value_kind:     global_buffer
      - .offset:         48
        .size:           8
        .value_kind:     by_value
      - .offset:         56
        .size:           8
        .value_kind:     by_value
      - .offset:         64
        .size:           8
        .value_kind:     by_value
      - .address_space:  global
        .offset:         72
        .size:           8
        .value_kind:     global_buffer
      - .offset:         80
        .size:           8
        .value_kind:     by_value
      - .offset:         88
        .size:           8
        .value_kind:     by_value
      - .offset:         96
        .size:           8
        .value_kind:     by_value
    .group_segment_fixed_size: 0
    .kernarg_segment_align: 8
    .kernarg_segment_size: 104
    .language:       OpenCL C
    .language_version:
      - 2
      - 0
    .max_flat_workgroup_size: 1024
    .name:           _ZL26rocblas_dgmm_gfx942_kernelILi32ELi32ELb0EPK19rocblas_complex_numIfEPS1_EviiT2_lllS5_lllT3_lll
    .private_segment_fixed_size: 0
    .sgpr_count:     0
    .sgpr_spill_count: 0
    .symbol:         _ZL26rocblas_dgmm_gfx942_kernelILi32ELi32ELb0EPK19rocblas_complex_numIfEPS1_EviiT2_lllS5_lllT3_lll.kd
    .uniform_work_group_size: 1
    .uses_dynamic_stack: false
    .vgpr_count:     0
    .vgpr_spill_count: 0
    .wavefront_size: 32
  - .args:
      - .offset:         0
        .size:           4
        .value_kind:     by_value
      - .offset:         4
        .size:           4
        .value_kind:     by_value
      - .address_space:  global
        .offset:         8
        .size:           8
        .value_kind:     global_buffer
      - .offset:         16
        .size:           8
        .value_kind:     by_value
      - .offset:         24
        .size:           8
        .value_kind:     by_value
      - .offset:         32
        .size:           8
        .value_kind:     by_value
      - .address_space:  global
        .offset:         40
        .size:           8
        .value_kind:     global_buffer
      - .offset:         48
        .size:           8
        .value_kind:     by_value
      - .offset:         56
        .size:           8
        .value_kind:     by_value
      - .offset:         64
        .size:           8
        .value_kind:     by_value
      - .address_space:  global
        .offset:         72
        .size:           8
        .value_kind:     global_buffer
      - .offset:         80
        .size:           8
        .value_kind:     by_value
      - .offset:         88
        .size:           8
        .value_kind:     by_value
      - .offset:         96
        .size:           8
        .value_kind:     by_value
      - .offset:         104
        .size:           4
        .value_kind:     by_value
      - .offset:         112
        .size:           4
        .value_kind:     hidden_block_count_x
      - .offset:         116
        .size:           4
        .value_kind:     hidden_block_count_y
      - .offset:         120
        .size:           4
        .value_kind:     hidden_block_count_z
      - .offset:         124
        .size:           2
        .value_kind:     hidden_group_size_x
      - .offset:         126
        .size:           2
        .value_kind:     hidden_group_size_y
      - .offset:         128
        .size:           2
        .value_kind:     hidden_group_size_z
      - .offset:         130
        .size:           2
        .value_kind:     hidden_remainder_x
      - .offset:         132
        .size:           2
        .value_kind:     hidden_remainder_y
      - .offset:         134
        .size:           2
        .value_kind:     hidden_remainder_z
      - .offset:         152
        .size:           8
        .value_kind:     hidden_global_offset_x
      - .offset:         160
        .size:           8
        .value_kind:     hidden_global_offset_y
      - .offset:         168
        .size:           8
        .value_kind:     hidden_global_offset_z
      - .offset:         176
        .size:           2
        .value_kind:     hidden_grid_dims
    .group_segment_fixed_size: 0
    .kernarg_segment_align: 8
    .kernarg_segment_size: 368
    .language:       OpenCL C
    .language_version:
      - 2
      - 0
    .max_flat_workgroup_size: 256
    .name:           _ZL19rocblas_dgmm_kernelILi16ELi16ELb0EPK19rocblas_complex_numIfEPS1_EviiT2_lllS5_lllT3_llli
    .private_segment_fixed_size: 0
    .sgpr_count:     36
    .sgpr_spill_count: 0
    .symbol:         _ZL19rocblas_dgmm_kernelILi16ELi16ELb0EPK19rocblas_complex_numIfEPS1_EviiT2_lllS5_lllT3_llli.kd
    .uniform_work_group_size: 1
    .uses_dynamic_stack: false
    .vgpr_count:     26
    .vgpr_spill_count: 0
    .wavefront_size: 32
  - .args:
      - .offset:         0
        .size:           4
        .value_kind:     by_value
      - .offset:         4
        .size:           4
        .value_kind:     by_value
      - .address_space:  global
        .offset:         8
        .size:           8
        .value_kind:     global_buffer
      - .offset:         16
        .size:           8
        .value_kind:     by_value
      - .offset:         24
        .size:           8
        .value_kind:     by_value
      - .offset:         32
        .size:           8
        .value_kind:     by_value
      - .address_space:  global
        .offset:         40
        .size:           8
        .value_kind:     global_buffer
      - .offset:         48
        .size:           8
        .value_kind:     by_value
      - .offset:         56
        .size:           8
        .value_kind:     by_value
      - .offset:         64
        .size:           8
        .value_kind:     by_value
      - .address_space:  global
        .offset:         72
        .size:           8
        .value_kind:     global_buffer
      - .offset:         80
        .size:           8
        .value_kind:     by_value
      - .offset:         88
        .size:           8
        .value_kind:     by_value
      - .offset:         96
        .size:           8
        .value_kind:     by_value
    .group_segment_fixed_size: 0
    .kernarg_segment_align: 8
    .kernarg_segment_size: 104
    .language:       OpenCL C
    .language_version:
      - 2
      - 0
    .max_flat_workgroup_size: 1024
    .name:           _ZL26rocblas_dgmm_gfx942_kernelILi32ELi32ELb1EPK19rocblas_complex_numIfEPS1_EviiT2_lllS5_lllT3_lll
    .private_segment_fixed_size: 0
    .sgpr_count:     0
    .sgpr_spill_count: 0
    .symbol:         _ZL26rocblas_dgmm_gfx942_kernelILi32ELi32ELb1EPK19rocblas_complex_numIfEPS1_EviiT2_lllS5_lllT3_lll.kd
    .uniform_work_group_size: 1
    .uses_dynamic_stack: false
    .vgpr_count:     0
    .vgpr_spill_count: 0
    .wavefront_size: 32
  - .args:
      - .offset:         0
        .size:           4
        .value_kind:     by_value
      - .offset:         4
        .size:           4
        .value_kind:     by_value
      - .address_space:  global
        .offset:         8
        .size:           8
        .value_kind:     global_buffer
      - .offset:         16
        .size:           8
        .value_kind:     by_value
      - .offset:         24
        .size:           8
        .value_kind:     by_value
      - .offset:         32
        .size:           8
        .value_kind:     by_value
      - .address_space:  global
        .offset:         40
        .size:           8
        .value_kind:     global_buffer
      - .offset:         48
        .size:           8
        .value_kind:     by_value
      - .offset:         56
        .size:           8
        .value_kind:     by_value
      - .offset:         64
        .size:           8
        .value_kind:     by_value
      - .address_space:  global
        .offset:         72
        .size:           8
        .value_kind:     global_buffer
      - .offset:         80
        .size:           8
        .value_kind:     by_value
      - .offset:         88
        .size:           8
        .value_kind:     by_value
      - .offset:         96
        .size:           8
        .value_kind:     by_value
      - .offset:         104
        .size:           4
        .value_kind:     by_value
      - .offset:         112
        .size:           4
        .value_kind:     hidden_block_count_x
      - .offset:         116
        .size:           4
        .value_kind:     hidden_block_count_y
      - .offset:         120
        .size:           4
        .value_kind:     hidden_block_count_z
      - .offset:         124
        .size:           2
        .value_kind:     hidden_group_size_x
      - .offset:         126
        .size:           2
        .value_kind:     hidden_group_size_y
      - .offset:         128
        .size:           2
        .value_kind:     hidden_group_size_z
      - .offset:         130
        .size:           2
        .value_kind:     hidden_remainder_x
      - .offset:         132
        .size:           2
        .value_kind:     hidden_remainder_y
      - .offset:         134
        .size:           2
        .value_kind:     hidden_remainder_z
      - .offset:         152
        .size:           8
        .value_kind:     hidden_global_offset_x
      - .offset:         160
        .size:           8
        .value_kind:     hidden_global_offset_y
      - .offset:         168
        .size:           8
        .value_kind:     hidden_global_offset_z
      - .offset:         176
        .size:           2
        .value_kind:     hidden_grid_dims
    .group_segment_fixed_size: 0
    .kernarg_segment_align: 8
    .kernarg_segment_size: 368
    .language:       OpenCL C
    .language_version:
      - 2
      - 0
    .max_flat_workgroup_size: 256
    .name:           _ZL19rocblas_dgmm_kernelILi16ELi16ELb1EPK19rocblas_complex_numIfEPS1_EviiT2_lllS5_lllT3_llli
    .private_segment_fixed_size: 0
    .sgpr_count:     40
    .sgpr_spill_count: 0
    .symbol:         _ZL19rocblas_dgmm_kernelILi16ELi16ELb1EPK19rocblas_complex_numIfEPS1_EviiT2_lllS5_lllT3_llli.kd
    .uniform_work_group_size: 1
    .uses_dynamic_stack: false
    .vgpr_count:     22
    .vgpr_spill_count: 0
    .wavefront_size: 32
  - .args:
      - .offset:         0
        .size:           4
        .value_kind:     by_value
      - .offset:         4
        .size:           4
        .value_kind:     by_value
      - .address_space:  global
        .offset:         8
        .size:           8
        .value_kind:     global_buffer
      - .offset:         16
        .size:           8
        .value_kind:     by_value
      - .offset:         24
        .size:           8
        .value_kind:     by_value
      - .offset:         32
        .size:           8
        .value_kind:     by_value
      - .address_space:  global
        .offset:         40
        .size:           8
        .value_kind:     global_buffer
      - .offset:         48
        .size:           8
        .value_kind:     by_value
      - .offset:         56
        .size:           8
        .value_kind:     by_value
      - .offset:         64
        .size:           8
        .value_kind:     by_value
      - .address_space:  global
        .offset:         72
        .size:           8
        .value_kind:     global_buffer
      - .offset:         80
        .size:           8
        .value_kind:     by_value
      - .offset:         88
        .size:           8
        .value_kind:     by_value
      - .offset:         96
        .size:           8
        .value_kind:     by_value
    .group_segment_fixed_size: 0
    .kernarg_segment_align: 8
    .kernarg_segment_size: 104
    .language:       OpenCL C
    .language_version:
      - 2
      - 0
    .max_flat_workgroup_size: 1024
    .name:           _ZL26rocblas_dgmm_gfx942_kernelILi32ELi32ELb0EPK19rocblas_complex_numIdEPS1_EviiT2_lllS5_lllT3_lll
    .private_segment_fixed_size: 0
    .sgpr_count:     0
    .sgpr_spill_count: 0
    .symbol:         _ZL26rocblas_dgmm_gfx942_kernelILi32ELi32ELb0EPK19rocblas_complex_numIdEPS1_EviiT2_lllS5_lllT3_lll.kd
    .uniform_work_group_size: 1
    .uses_dynamic_stack: false
    .vgpr_count:     0
    .vgpr_spill_count: 0
    .wavefront_size: 32
  - .args:
      - .offset:         0
        .size:           4
        .value_kind:     by_value
      - .offset:         4
        .size:           4
        .value_kind:     by_value
      - .address_space:  global
        .offset:         8
        .size:           8
        .value_kind:     global_buffer
      - .offset:         16
        .size:           8
        .value_kind:     by_value
      - .offset:         24
        .size:           8
        .value_kind:     by_value
      - .offset:         32
        .size:           8
        .value_kind:     by_value
      - .address_space:  global
        .offset:         40
        .size:           8
        .value_kind:     global_buffer
      - .offset:         48
        .size:           8
        .value_kind:     by_value
      - .offset:         56
        .size:           8
        .value_kind:     by_value
      - .offset:         64
        .size:           8
        .value_kind:     by_value
      - .address_space:  global
        .offset:         72
        .size:           8
        .value_kind:     global_buffer
      - .offset:         80
        .size:           8
        .value_kind:     by_value
      - .offset:         88
        .size:           8
        .value_kind:     by_value
      - .offset:         96
        .size:           8
        .value_kind:     by_value
      - .offset:         104
        .size:           4
        .value_kind:     by_value
      - .offset:         112
        .size:           4
        .value_kind:     hidden_block_count_x
      - .offset:         116
        .size:           4
        .value_kind:     hidden_block_count_y
      - .offset:         120
        .size:           4
        .value_kind:     hidden_block_count_z
      - .offset:         124
        .size:           2
        .value_kind:     hidden_group_size_x
      - .offset:         126
        .size:           2
        .value_kind:     hidden_group_size_y
      - .offset:         128
        .size:           2
        .value_kind:     hidden_group_size_z
      - .offset:         130
        .size:           2
        .value_kind:     hidden_remainder_x
      - .offset:         132
        .size:           2
        .value_kind:     hidden_remainder_y
      - .offset:         134
        .size:           2
        .value_kind:     hidden_remainder_z
      - .offset:         152
        .size:           8
        .value_kind:     hidden_global_offset_x
      - .offset:         160
        .size:           8
        .value_kind:     hidden_global_offset_y
      - .offset:         168
        .size:           8
        .value_kind:     hidden_global_offset_z
      - .offset:         176
        .size:           2
        .value_kind:     hidden_grid_dims
    .group_segment_fixed_size: 0
    .kernarg_segment_align: 8
    .kernarg_segment_size: 368
    .language:       OpenCL C
    .language_version:
      - 2
      - 0
    .max_flat_workgroup_size: 256
    .name:           _ZL19rocblas_dgmm_kernelILi16ELi16ELb0EPK19rocblas_complex_numIdEPS1_EviiT2_lllS5_lllT3_llli
    .private_segment_fixed_size: 0
    .sgpr_count:     36
    .sgpr_spill_count: 0
    .symbol:         _ZL19rocblas_dgmm_kernelILi16ELi16ELb0EPK19rocblas_complex_numIdEPS1_EviiT2_lllS5_lllT3_llli.kd
    .uniform_work_group_size: 1
    .uses_dynamic_stack: false
    .vgpr_count:     30
    .vgpr_spill_count: 0
    .wavefront_size: 32
  - .args:
      - .offset:         0
        .size:           4
        .value_kind:     by_value
      - .offset:         4
        .size:           4
        .value_kind:     by_value
      - .address_space:  global
        .offset:         8
        .size:           8
        .value_kind:     global_buffer
      - .offset:         16
        .size:           8
        .value_kind:     by_value
      - .offset:         24
        .size:           8
        .value_kind:     by_value
      - .offset:         32
        .size:           8
        .value_kind:     by_value
      - .address_space:  global
        .offset:         40
        .size:           8
        .value_kind:     global_buffer
      - .offset:         48
        .size:           8
        .value_kind:     by_value
      - .offset:         56
        .size:           8
        .value_kind:     by_value
      - .offset:         64
        .size:           8
        .value_kind:     by_value
      - .address_space:  global
        .offset:         72
        .size:           8
        .value_kind:     global_buffer
      - .offset:         80
        .size:           8
        .value_kind:     by_value
      - .offset:         88
        .size:           8
        .value_kind:     by_value
      - .offset:         96
        .size:           8
        .value_kind:     by_value
    .group_segment_fixed_size: 0
    .kernarg_segment_align: 8
    .kernarg_segment_size: 104
    .language:       OpenCL C
    .language_version:
      - 2
      - 0
    .max_flat_workgroup_size: 1024
    .name:           _ZL26rocblas_dgmm_gfx942_kernelILi32ELi32ELb1EPK19rocblas_complex_numIdEPS1_EviiT2_lllS5_lllT3_lll
    .private_segment_fixed_size: 0
    .sgpr_count:     0
    .sgpr_spill_count: 0
    .symbol:         _ZL26rocblas_dgmm_gfx942_kernelILi32ELi32ELb1EPK19rocblas_complex_numIdEPS1_EviiT2_lllS5_lllT3_lll.kd
    .uniform_work_group_size: 1
    .uses_dynamic_stack: false
    .vgpr_count:     0
    .vgpr_spill_count: 0
    .wavefront_size: 32
  - .args:
      - .offset:         0
        .size:           4
        .value_kind:     by_value
      - .offset:         4
        .size:           4
        .value_kind:     by_value
      - .address_space:  global
        .offset:         8
        .size:           8
        .value_kind:     global_buffer
      - .offset:         16
        .size:           8
        .value_kind:     by_value
      - .offset:         24
        .size:           8
        .value_kind:     by_value
      - .offset:         32
        .size:           8
        .value_kind:     by_value
      - .address_space:  global
        .offset:         40
        .size:           8
        .value_kind:     global_buffer
      - .offset:         48
        .size:           8
        .value_kind:     by_value
      - .offset:         56
        .size:           8
        .value_kind:     by_value
      - .offset:         64
        .size:           8
        .value_kind:     by_value
      - .address_space:  global
        .offset:         72
        .size:           8
        .value_kind:     global_buffer
      - .offset:         80
        .size:           8
        .value_kind:     by_value
      - .offset:         88
        .size:           8
        .value_kind:     by_value
      - .offset:         96
        .size:           8
        .value_kind:     by_value
      - .offset:         104
        .size:           4
        .value_kind:     by_value
      - .offset:         112
        .size:           4
        .value_kind:     hidden_block_count_x
      - .offset:         116
        .size:           4
        .value_kind:     hidden_block_count_y
      - .offset:         120
        .size:           4
        .value_kind:     hidden_block_count_z
      - .offset:         124
        .size:           2
        .value_kind:     hidden_group_size_x
      - .offset:         126
        .size:           2
        .value_kind:     hidden_group_size_y
      - .offset:         128
        .size:           2
        .value_kind:     hidden_group_size_z
      - .offset:         130
        .size:           2
        .value_kind:     hidden_remainder_x
      - .offset:         132
        .size:           2
        .value_kind:     hidden_remainder_y
      - .offset:         134
        .size:           2
        .value_kind:     hidden_remainder_z
      - .offset:         152
        .size:           8
        .value_kind:     hidden_global_offset_x
      - .offset:         160
        .size:           8
        .value_kind:     hidden_global_offset_y
      - .offset:         168
        .size:           8
        .value_kind:     hidden_global_offset_z
      - .offset:         176
        .size:           2
        .value_kind:     hidden_grid_dims
    .group_segment_fixed_size: 0
    .kernarg_segment_align: 8
    .kernarg_segment_size: 368
    .language:       OpenCL C
    .language_version:
      - 2
      - 0
    .max_flat_workgroup_size: 256
    .name:           _ZL19rocblas_dgmm_kernelILi16ELi16ELb1EPK19rocblas_complex_numIdEPS1_EviiT2_lllS5_lllT3_llli
    .private_segment_fixed_size: 0
    .sgpr_count:     40
    .sgpr_spill_count: 0
    .symbol:         _ZL19rocblas_dgmm_kernelILi16ELi16ELb1EPK19rocblas_complex_numIdEPS1_EviiT2_lllS5_lllT3_llli.kd
    .uniform_work_group_size: 1
    .uses_dynamic_stack: false
    .vgpr_count:     26
    .vgpr_spill_count: 0
    .wavefront_size: 32
  - .args:
      - .offset:         0
        .size:           4
        .value_kind:     by_value
      - .offset:         4
        .size:           4
        .value_kind:     by_value
      - .address_space:  global
        .offset:         8
        .size:           8
        .value_kind:     global_buffer
      - .offset:         16
        .size:           8
        .value_kind:     by_value
      - .offset:         24
        .size:           8
        .value_kind:     by_value
      - .offset:         32
        .size:           8
        .value_kind:     by_value
      - .address_space:  global
        .offset:         40
        .size:           8
        .value_kind:     global_buffer
      - .offset:         48
        .size:           8
        .value_kind:     by_value
      - .offset:         56
        .size:           8
        .value_kind:     by_value
      - .offset:         64
        .size:           8
        .value_kind:     by_value
      - .address_space:  global
        .offset:         72
        .size:           8
        .value_kind:     global_buffer
      - .offset:         80
        .size:           8
        .value_kind:     by_value
      - .offset:         88
        .size:           8
        .value_kind:     by_value
      - .offset:         96
        .size:           8
        .value_kind:     by_value
    .group_segment_fixed_size: 0
    .kernarg_segment_align: 8
    .kernarg_segment_size: 104
    .language:       OpenCL C
    .language_version:
      - 2
      - 0
    .max_flat_workgroup_size: 1024
    .name:           _ZL26rocblas_dgmm_gfx942_kernelILi32ELi32ELb0EPKPKfPKPfEviiT2_lllS7_lllT3_lll
    .private_segment_fixed_size: 0
    .sgpr_count:     0
    .sgpr_spill_count: 0
    .symbol:         _ZL26rocblas_dgmm_gfx942_kernelILi32ELi32ELb0EPKPKfPKPfEviiT2_lllS7_lllT3_lll.kd
    .uniform_work_group_size: 1
    .uses_dynamic_stack: false
    .vgpr_count:     0
    .vgpr_spill_count: 0
    .wavefront_size: 32
  - .args:
      - .offset:         0
        .size:           4
        .value_kind:     by_value
      - .offset:         4
        .size:           4
        .value_kind:     by_value
      - .address_space:  global
        .offset:         8
        .size:           8
        .value_kind:     global_buffer
      - .offset:         16
        .size:           8
        .value_kind:     by_value
      - .offset:         24
        .size:           8
        .value_kind:     by_value
      - .offset:         32
        .size:           8
        .value_kind:     by_value
      - .address_space:  global
        .offset:         40
        .size:           8
        .value_kind:     global_buffer
      - .offset:         48
        .size:           8
        .value_kind:     by_value
      - .offset:         56
        .size:           8
        .value_kind:     by_value
      - .offset:         64
        .size:           8
        .value_kind:     by_value
      - .address_space:  global
        .offset:         72
        .size:           8
        .value_kind:     global_buffer
      - .offset:         80
        .size:           8
        .value_kind:     by_value
      - .offset:         88
        .size:           8
        .value_kind:     by_value
      - .offset:         96
        .size:           8
        .value_kind:     by_value
      - .offset:         104
        .size:           4
        .value_kind:     by_value
      - .offset:         112
        .size:           4
        .value_kind:     hidden_block_count_x
      - .offset:         116
        .size:           4
        .value_kind:     hidden_block_count_y
      - .offset:         120
        .size:           4
        .value_kind:     hidden_block_count_z
      - .offset:         124
        .size:           2
        .value_kind:     hidden_group_size_x
      - .offset:         126
        .size:           2
        .value_kind:     hidden_group_size_y
      - .offset:         128
        .size:           2
        .value_kind:     hidden_group_size_z
      - .offset:         130
        .size:           2
        .value_kind:     hidden_remainder_x
      - .offset:         132
        .size:           2
        .value_kind:     hidden_remainder_y
      - .offset:         134
        .size:           2
        .value_kind:     hidden_remainder_z
      - .offset:         152
        .size:           8
        .value_kind:     hidden_global_offset_x
      - .offset:         160
        .size:           8
        .value_kind:     hidden_global_offset_y
      - .offset:         168
        .size:           8
        .value_kind:     hidden_global_offset_z
      - .offset:         176
        .size:           2
        .value_kind:     hidden_grid_dims
    .group_segment_fixed_size: 0
    .kernarg_segment_align: 8
    .kernarg_segment_size: 368
    .language:       OpenCL C
    .language_version:
      - 2
      - 0
    .max_flat_workgroup_size: 256
    .name:           _ZL19rocblas_dgmm_kernelILi16ELi16ELb0EPKPKfPKPfEviiT2_lllS7_lllT3_llli
    .private_segment_fixed_size: 0
    .sgpr_count:     32
    .sgpr_spill_count: 0
    .symbol:         _ZL19rocblas_dgmm_kernelILi16ELi16ELb0EPKPKfPKPfEviiT2_lllS7_lllT3_llli.kd
    .uniform_work_group_size: 1
    .uses_dynamic_stack: false
    .vgpr_count:     17
    .vgpr_spill_count: 0
    .wavefront_size: 32
  - .args:
      - .offset:         0
        .size:           4
        .value_kind:     by_value
      - .offset:         4
        .size:           4
        .value_kind:     by_value
      - .address_space:  global
        .offset:         8
        .size:           8
        .value_kind:     global_buffer
      - .offset:         16
        .size:           8
        .value_kind:     by_value
      - .offset:         24
        .size:           8
        .value_kind:     by_value
      - .offset:         32
        .size:           8
        .value_kind:     by_value
      - .address_space:  global
        .offset:         40
        .size:           8
        .value_kind:     global_buffer
      - .offset:         48
        .size:           8
        .value_kind:     by_value
      - .offset:         56
        .size:           8
        .value_kind:     by_value
      - .offset:         64
        .size:           8
        .value_kind:     by_value
      - .address_space:  global
        .offset:         72
        .size:           8
        .value_kind:     global_buffer
      - .offset:         80
        .size:           8
        .value_kind:     by_value
      - .offset:         88
        .size:           8
        .value_kind:     by_value
      - .offset:         96
        .size:           8
        .value_kind:     by_value
    .group_segment_fixed_size: 0
    .kernarg_segment_align: 8
    .kernarg_segment_size: 104
    .language:       OpenCL C
    .language_version:
      - 2
      - 0
    .max_flat_workgroup_size: 1024
    .name:           _ZL26rocblas_dgmm_gfx942_kernelILi32ELi32ELb1EPKPKfPKPfEviiT2_lllS7_lllT3_lll
    .private_segment_fixed_size: 0
    .sgpr_count:     0
    .sgpr_spill_count: 0
    .symbol:         _ZL26rocblas_dgmm_gfx942_kernelILi32ELi32ELb1EPKPKfPKPfEviiT2_lllS7_lllT3_lll.kd
    .uniform_work_group_size: 1
    .uses_dynamic_stack: false
    .vgpr_count:     0
    .vgpr_spill_count: 0
    .wavefront_size: 32
  - .args:
      - .offset:         0
        .size:           4
        .value_kind:     by_value
      - .offset:         4
        .size:           4
        .value_kind:     by_value
      - .address_space:  global
        .offset:         8
        .size:           8
        .value_kind:     global_buffer
      - .offset:         16
        .size:           8
        .value_kind:     by_value
      - .offset:         24
        .size:           8
        .value_kind:     by_value
      - .offset:         32
        .size:           8
        .value_kind:     by_value
      - .address_space:  global
        .offset:         40
        .size:           8
        .value_kind:     global_buffer
      - .offset:         48
        .size:           8
        .value_kind:     by_value
      - .offset:         56
        .size:           8
        .value_kind:     by_value
      - .offset:         64
        .size:           8
        .value_kind:     by_value
      - .address_space:  global
        .offset:         72
        .size:           8
        .value_kind:     global_buffer
      - .offset:         80
        .size:           8
        .value_kind:     by_value
      - .offset:         88
        .size:           8
        .value_kind:     by_value
      - .offset:         96
        .size:           8
        .value_kind:     by_value
      - .offset:         104
        .size:           4
        .value_kind:     by_value
      - .offset:         112
        .size:           4
        .value_kind:     hidden_block_count_x
      - .offset:         116
        .size:           4
        .value_kind:     hidden_block_count_y
      - .offset:         120
        .size:           4
        .value_kind:     hidden_block_count_z
      - .offset:         124
        .size:           2
        .value_kind:     hidden_group_size_x
      - .offset:         126
        .size:           2
        .value_kind:     hidden_group_size_y
      - .offset:         128
        .size:           2
        .value_kind:     hidden_group_size_z
      - .offset:         130
        .size:           2
        .value_kind:     hidden_remainder_x
      - .offset:         132
        .size:           2
        .value_kind:     hidden_remainder_y
      - .offset:         134
        .size:           2
        .value_kind:     hidden_remainder_z
      - .offset:         152
        .size:           8
        .value_kind:     hidden_global_offset_x
      - .offset:         160
        .size:           8
        .value_kind:     hidden_global_offset_y
      - .offset:         168
        .size:           8
        .value_kind:     hidden_global_offset_z
      - .offset:         176
        .size:           2
        .value_kind:     hidden_grid_dims
    .group_segment_fixed_size: 0
    .kernarg_segment_align: 8
    .kernarg_segment_size: 368
    .language:       OpenCL C
    .language_version:
      - 2
      - 0
    .max_flat_workgroup_size: 256
    .name:           _ZL19rocblas_dgmm_kernelILi16ELi16ELb1EPKPKfPKPfEviiT2_lllS7_lllT3_llli
    .private_segment_fixed_size: 0
    .sgpr_count:     34
    .sgpr_spill_count: 0
    .symbol:         _ZL19rocblas_dgmm_kernelILi16ELi16ELb1EPKPKfPKPfEviiT2_lllS7_lllT3_llli.kd
    .uniform_work_group_size: 1
    .uses_dynamic_stack: false
    .vgpr_count:     15
    .vgpr_spill_count: 0
    .wavefront_size: 32
  - .args:
      - .offset:         0
        .size:           4
        .value_kind:     by_value
      - .offset:         4
        .size:           4
        .value_kind:     by_value
      - .address_space:  global
        .offset:         8
        .size:           8
        .value_kind:     global_buffer
      - .offset:         16
        .size:           8
        .value_kind:     by_value
      - .offset:         24
        .size:           8
        .value_kind:     by_value
      - .offset:         32
        .size:           8
        .value_kind:     by_value
      - .address_space:  global
        .offset:         40
        .size:           8
        .value_kind:     global_buffer
      - .offset:         48
        .size:           8
        .value_kind:     by_value
      - .offset:         56
        .size:           8
        .value_kind:     by_value
      - .offset:         64
        .size:           8
        .value_kind:     by_value
      - .address_space:  global
        .offset:         72
        .size:           8
        .value_kind:     global_buffer
      - .offset:         80
        .size:           8
        .value_kind:     by_value
      - .offset:         88
        .size:           8
        .value_kind:     by_value
      - .offset:         96
        .size:           8
        .value_kind:     by_value
    .group_segment_fixed_size: 0
    .kernarg_segment_align: 8
    .kernarg_segment_size: 104
    .language:       OpenCL C
    .language_version:
      - 2
      - 0
    .max_flat_workgroup_size: 1024
    .name:           _ZL26rocblas_dgmm_gfx942_kernelILi32ELi32ELb0EPKPKdPKPdEviiT2_lllS7_lllT3_lll
    .private_segment_fixed_size: 0
    .sgpr_count:     0
    .sgpr_spill_count: 0
    .symbol:         _ZL26rocblas_dgmm_gfx942_kernelILi32ELi32ELb0EPKPKdPKPdEviiT2_lllS7_lllT3_lll.kd
    .uniform_work_group_size: 1
    .uses_dynamic_stack: false
    .vgpr_count:     0
    .vgpr_spill_count: 0
    .wavefront_size: 32
  - .args:
      - .offset:         0
        .size:           4
        .value_kind:     by_value
      - .offset:         4
        .size:           4
        .value_kind:     by_value
      - .address_space:  global
        .offset:         8
        .size:           8
        .value_kind:     global_buffer
      - .offset:         16
        .size:           8
        .value_kind:     by_value
      - .offset:         24
        .size:           8
        .value_kind:     by_value
      - .offset:         32
        .size:           8
        .value_kind:     by_value
      - .address_space:  global
        .offset:         40
        .size:           8
        .value_kind:     global_buffer
      - .offset:         48
        .size:           8
        .value_kind:     by_value
      - .offset:         56
        .size:           8
        .value_kind:     by_value
      - .offset:         64
        .size:           8
        .value_kind:     by_value
      - .address_space:  global
        .offset:         72
        .size:           8
        .value_kind:     global_buffer
      - .offset:         80
        .size:           8
        .value_kind:     by_value
      - .offset:         88
        .size:           8
        .value_kind:     by_value
      - .offset:         96
        .size:           8
        .value_kind:     by_value
      - .offset:         104
        .size:           4
        .value_kind:     by_value
      - .offset:         112
        .size:           4
        .value_kind:     hidden_block_count_x
      - .offset:         116
        .size:           4
        .value_kind:     hidden_block_count_y
      - .offset:         120
        .size:           4
        .value_kind:     hidden_block_count_z
      - .offset:         124
        .size:           2
        .value_kind:     hidden_group_size_x
      - .offset:         126
        .size:           2
        .value_kind:     hidden_group_size_y
      - .offset:         128
        .size:           2
        .value_kind:     hidden_group_size_z
      - .offset:         130
        .size:           2
        .value_kind:     hidden_remainder_x
      - .offset:         132
        .size:           2
        .value_kind:     hidden_remainder_y
      - .offset:         134
        .size:           2
        .value_kind:     hidden_remainder_z
      - .offset:         152
        .size:           8
        .value_kind:     hidden_global_offset_x
      - .offset:         160
        .size:           8
        .value_kind:     hidden_global_offset_y
      - .offset:         168
        .size:           8
        .value_kind:     hidden_global_offset_z
      - .offset:         176
        .size:           2
        .value_kind:     hidden_grid_dims
    .group_segment_fixed_size: 0
    .kernarg_segment_align: 8
    .kernarg_segment_size: 368
    .language:       OpenCL C
    .language_version:
      - 2
      - 0
    .max_flat_workgroup_size: 256
    .name:           _ZL19rocblas_dgmm_kernelILi16ELi16ELb0EPKPKdPKPdEviiT2_lllS7_lllT3_llli
    .private_segment_fixed_size: 0
    .sgpr_count:     32
    .sgpr_spill_count: 0
    .symbol:         _ZL19rocblas_dgmm_kernelILi16ELi16ELb0EPKPKdPKPdEviiT2_lllS7_lllT3_llli.kd
    .uniform_work_group_size: 1
    .uses_dynamic_stack: false
    .vgpr_count:     20
    .vgpr_spill_count: 0
    .wavefront_size: 32
  - .args:
      - .offset:         0
        .size:           4
        .value_kind:     by_value
      - .offset:         4
        .size:           4
        .value_kind:     by_value
      - .address_space:  global
        .offset:         8
        .size:           8
        .value_kind:     global_buffer
      - .offset:         16
        .size:           8
        .value_kind:     by_value
      - .offset:         24
        .size:           8
        .value_kind:     by_value
      - .offset:         32
        .size:           8
        .value_kind:     by_value
      - .address_space:  global
        .offset:         40
        .size:           8
        .value_kind:     global_buffer
      - .offset:         48
        .size:           8
        .value_kind:     by_value
      - .offset:         56
        .size:           8
        .value_kind:     by_value
      - .offset:         64
        .size:           8
        .value_kind:     by_value
      - .address_space:  global
        .offset:         72
        .size:           8
        .value_kind:     global_buffer
      - .offset:         80
        .size:           8
        .value_kind:     by_value
      - .offset:         88
        .size:           8
        .value_kind:     by_value
      - .offset:         96
        .size:           8
        .value_kind:     by_value
    .group_segment_fixed_size: 0
    .kernarg_segment_align: 8
    .kernarg_segment_size: 104
    .language:       OpenCL C
    .language_version:
      - 2
      - 0
    .max_flat_workgroup_size: 1024
    .name:           _ZL26rocblas_dgmm_gfx942_kernelILi32ELi32ELb1EPKPKdPKPdEviiT2_lllS7_lllT3_lll
    .private_segment_fixed_size: 0
    .sgpr_count:     0
    .sgpr_spill_count: 0
    .symbol:         _ZL26rocblas_dgmm_gfx942_kernelILi32ELi32ELb1EPKPKdPKPdEviiT2_lllS7_lllT3_lll.kd
    .uniform_work_group_size: 1
    .uses_dynamic_stack: false
    .vgpr_count:     0
    .vgpr_spill_count: 0
    .wavefront_size: 32
  - .args:
      - .offset:         0
        .size:           4
        .value_kind:     by_value
      - .offset:         4
        .size:           4
        .value_kind:     by_value
      - .address_space:  global
        .offset:         8
        .size:           8
        .value_kind:     global_buffer
      - .offset:         16
        .size:           8
        .value_kind:     by_value
      - .offset:         24
        .size:           8
        .value_kind:     by_value
      - .offset:         32
        .size:           8
        .value_kind:     by_value
      - .address_space:  global
        .offset:         40
        .size:           8
        .value_kind:     global_buffer
      - .offset:         48
        .size:           8
        .value_kind:     by_value
      - .offset:         56
        .size:           8
        .value_kind:     by_value
      - .offset:         64
        .size:           8
        .value_kind:     by_value
      - .address_space:  global
        .offset:         72
        .size:           8
        .value_kind:     global_buffer
      - .offset:         80
        .size:           8
        .value_kind:     by_value
      - .offset:         88
        .size:           8
        .value_kind:     by_value
      - .offset:         96
        .size:           8
        .value_kind:     by_value
      - .offset:         104
        .size:           4
        .value_kind:     by_value
      - .offset:         112
        .size:           4
        .value_kind:     hidden_block_count_x
      - .offset:         116
        .size:           4
        .value_kind:     hidden_block_count_y
      - .offset:         120
        .size:           4
        .value_kind:     hidden_block_count_z
      - .offset:         124
        .size:           2
        .value_kind:     hidden_group_size_x
      - .offset:         126
        .size:           2
        .value_kind:     hidden_group_size_y
      - .offset:         128
        .size:           2
        .value_kind:     hidden_group_size_z
      - .offset:         130
        .size:           2
        .value_kind:     hidden_remainder_x
      - .offset:         132
        .size:           2
        .value_kind:     hidden_remainder_y
      - .offset:         134
        .size:           2
        .value_kind:     hidden_remainder_z
      - .offset:         152
        .size:           8
        .value_kind:     hidden_global_offset_x
      - .offset:         160
        .size:           8
        .value_kind:     hidden_global_offset_y
      - .offset:         168
        .size:           8
        .value_kind:     hidden_global_offset_z
      - .offset:         176
        .size:           2
        .value_kind:     hidden_grid_dims
    .group_segment_fixed_size: 0
    .kernarg_segment_align: 8
    .kernarg_segment_size: 368
    .language:       OpenCL C
    .language_version:
      - 2
      - 0
    .max_flat_workgroup_size: 256
    .name:           _ZL19rocblas_dgmm_kernelILi16ELi16ELb1EPKPKdPKPdEviiT2_lllS7_lllT3_llli
    .private_segment_fixed_size: 0
    .sgpr_count:     34
    .sgpr_spill_count: 0
    .symbol:         _ZL19rocblas_dgmm_kernelILi16ELi16ELb1EPKPKdPKPdEviiT2_lllS7_lllT3_llli.kd
    .uniform_work_group_size: 1
    .uses_dynamic_stack: false
    .vgpr_count:     18
    .vgpr_spill_count: 0
    .wavefront_size: 32
  - .args:
      - .offset:         0
        .size:           4
        .value_kind:     by_value
      - .offset:         4
        .size:           4
        .value_kind:     by_value
      - .address_space:  global
        .offset:         8
        .size:           8
        .value_kind:     global_buffer
      - .offset:         16
        .size:           8
        .value_kind:     by_value
      - .offset:         24
        .size:           8
        .value_kind:     by_value
      - .offset:         32
        .size:           8
        .value_kind:     by_value
      - .address_space:  global
        .offset:         40
        .size:           8
        .value_kind:     global_buffer
      - .offset:         48
        .size:           8
        .value_kind:     by_value
      - .offset:         56
        .size:           8
        .value_kind:     by_value
      - .offset:         64
        .size:           8
        .value_kind:     by_value
      - .address_space:  global
        .offset:         72
        .size:           8
        .value_kind:     global_buffer
      - .offset:         80
        .size:           8
        .value_kind:     by_value
      - .offset:         88
        .size:           8
        .value_kind:     by_value
      - .offset:         96
        .size:           8
        .value_kind:     by_value
    .group_segment_fixed_size: 0
    .kernarg_segment_align: 8
    .kernarg_segment_size: 104
    .language:       OpenCL C
    .language_version:
      - 2
      - 0
    .max_flat_workgroup_size: 1024
    .name:           _ZL26rocblas_dgmm_gfx942_kernelILi32ELi32ELb0EPKPK19rocblas_complex_numIfEPKPS1_EviiT2_lllS9_lllT3_lll
    .private_segment_fixed_size: 0
    .sgpr_count:     0
    .sgpr_spill_count: 0
    .symbol:         _ZL26rocblas_dgmm_gfx942_kernelILi32ELi32ELb0EPKPK19rocblas_complex_numIfEPKPS1_EviiT2_lllS9_lllT3_lll.kd
    .uniform_work_group_size: 1
    .uses_dynamic_stack: false
    .vgpr_count:     0
    .vgpr_spill_count: 0
    .wavefront_size: 32
  - .args:
      - .offset:         0
        .size:           4
        .value_kind:     by_value
      - .offset:         4
        .size:           4
        .value_kind:     by_value
      - .address_space:  global
        .offset:         8
        .size:           8
        .value_kind:     global_buffer
      - .offset:         16
        .size:           8
        .value_kind:     by_value
      - .offset:         24
        .size:           8
        .value_kind:     by_value
      - .offset:         32
        .size:           8
        .value_kind:     by_value
      - .address_space:  global
        .offset:         40
        .size:           8
        .value_kind:     global_buffer
      - .offset:         48
        .size:           8
        .value_kind:     by_value
      - .offset:         56
        .size:           8
        .value_kind:     by_value
      - .offset:         64
        .size:           8
        .value_kind:     by_value
      - .address_space:  global
        .offset:         72
        .size:           8
        .value_kind:     global_buffer
      - .offset:         80
        .size:           8
        .value_kind:     by_value
      - .offset:         88
        .size:           8
        .value_kind:     by_value
      - .offset:         96
        .size:           8
        .value_kind:     by_value
      - .offset:         104
        .size:           4
        .value_kind:     by_value
      - .offset:         112
        .size:           4
        .value_kind:     hidden_block_count_x
      - .offset:         116
        .size:           4
        .value_kind:     hidden_block_count_y
      - .offset:         120
        .size:           4
        .value_kind:     hidden_block_count_z
      - .offset:         124
        .size:           2
        .value_kind:     hidden_group_size_x
      - .offset:         126
        .size:           2
        .value_kind:     hidden_group_size_y
      - .offset:         128
        .size:           2
        .value_kind:     hidden_group_size_z
      - .offset:         130
        .size:           2
        .value_kind:     hidden_remainder_x
      - .offset:         132
        .size:           2
        .value_kind:     hidden_remainder_y
      - .offset:         134
        .size:           2
        .value_kind:     hidden_remainder_z
      - .offset:         152
        .size:           8
        .value_kind:     hidden_global_offset_x
      - .offset:         160
        .size:           8
        .value_kind:     hidden_global_offset_y
      - .offset:         168
        .size:           8
        .value_kind:     hidden_global_offset_z
      - .offset:         176
        .size:           2
        .value_kind:     hidden_grid_dims
    .group_segment_fixed_size: 0
    .kernarg_segment_align: 8
    .kernarg_segment_size: 368
    .language:       OpenCL C
    .language_version:
      - 2
      - 0
    .max_flat_workgroup_size: 256
    .name:           _ZL19rocblas_dgmm_kernelILi16ELi16ELb0EPKPK19rocblas_complex_numIfEPKPS1_EviiT2_lllS9_lllT3_llli
    .private_segment_fixed_size: 0
    .sgpr_count:     32
    .sgpr_spill_count: 0
    .symbol:         _ZL19rocblas_dgmm_kernelILi16ELi16ELb0EPKPK19rocblas_complex_numIfEPKPS1_EviiT2_lllS9_lllT3_llli.kd
    .uniform_work_group_size: 1
    .uses_dynamic_stack: false
    .vgpr_count:     24
    .vgpr_spill_count: 0
    .wavefront_size: 32
  - .args:
      - .offset:         0
        .size:           4
        .value_kind:     by_value
      - .offset:         4
        .size:           4
        .value_kind:     by_value
      - .address_space:  global
        .offset:         8
        .size:           8
        .value_kind:     global_buffer
      - .offset:         16
        .size:           8
        .value_kind:     by_value
      - .offset:         24
        .size:           8
        .value_kind:     by_value
      - .offset:         32
        .size:           8
        .value_kind:     by_value
      - .address_space:  global
        .offset:         40
        .size:           8
        .value_kind:     global_buffer
      - .offset:         48
        .size:           8
        .value_kind:     by_value
      - .offset:         56
        .size:           8
        .value_kind:     by_value
      - .offset:         64
        .size:           8
        .value_kind:     by_value
      - .address_space:  global
        .offset:         72
        .size:           8
        .value_kind:     global_buffer
      - .offset:         80
        .size:           8
        .value_kind:     by_value
      - .offset:         88
        .size:           8
        .value_kind:     by_value
      - .offset:         96
        .size:           8
        .value_kind:     by_value
    .group_segment_fixed_size: 0
    .kernarg_segment_align: 8
    .kernarg_segment_size: 104
    .language:       OpenCL C
    .language_version:
      - 2
      - 0
    .max_flat_workgroup_size: 1024
    .name:           _ZL26rocblas_dgmm_gfx942_kernelILi32ELi32ELb1EPKPK19rocblas_complex_numIfEPKPS1_EviiT2_lllS9_lllT3_lll
    .private_segment_fixed_size: 0
    .sgpr_count:     0
    .sgpr_spill_count: 0
    .symbol:         _ZL26rocblas_dgmm_gfx942_kernelILi32ELi32ELb1EPKPK19rocblas_complex_numIfEPKPS1_EviiT2_lllS9_lllT3_lll.kd
    .uniform_work_group_size: 1
    .uses_dynamic_stack: false
    .vgpr_count:     0
    .vgpr_spill_count: 0
    .wavefront_size: 32
  - .args:
      - .offset:         0
        .size:           4
        .value_kind:     by_value
      - .offset:         4
        .size:           4
        .value_kind:     by_value
      - .address_space:  global
        .offset:         8
        .size:           8
        .value_kind:     global_buffer
      - .offset:         16
        .size:           8
        .value_kind:     by_value
      - .offset:         24
        .size:           8
        .value_kind:     by_value
      - .offset:         32
        .size:           8
        .value_kind:     by_value
      - .address_space:  global
        .offset:         40
        .size:           8
        .value_kind:     global_buffer
      - .offset:         48
        .size:           8
        .value_kind:     by_value
      - .offset:         56
        .size:           8
        .value_kind:     by_value
      - .offset:         64
        .size:           8
        .value_kind:     by_value
      - .address_space:  global
        .offset:         72
        .size:           8
        .value_kind:     global_buffer
      - .offset:         80
        .size:           8
        .value_kind:     by_value
      - .offset:         88
        .size:           8
        .value_kind:     by_value
      - .offset:         96
        .size:           8
        .value_kind:     by_value
      - .offset:         104
        .size:           4
        .value_kind:     by_value
      - .offset:         112
        .size:           4
        .value_kind:     hidden_block_count_x
      - .offset:         116
        .size:           4
        .value_kind:     hidden_block_count_y
      - .offset:         120
        .size:           4
        .value_kind:     hidden_block_count_z
      - .offset:         124
        .size:           2
        .value_kind:     hidden_group_size_x
      - .offset:         126
        .size:           2
        .value_kind:     hidden_group_size_y
      - .offset:         128
        .size:           2
        .value_kind:     hidden_group_size_z
      - .offset:         130
        .size:           2
        .value_kind:     hidden_remainder_x
      - .offset:         132
        .size:           2
        .value_kind:     hidden_remainder_y
      - .offset:         134
        .size:           2
        .value_kind:     hidden_remainder_z
      - .offset:         152
        .size:           8
        .value_kind:     hidden_global_offset_x
      - .offset:         160
        .size:           8
        .value_kind:     hidden_global_offset_y
      - .offset:         168
        .size:           8
        .value_kind:     hidden_global_offset_z
      - .offset:         176
        .size:           2
        .value_kind:     hidden_grid_dims
    .group_segment_fixed_size: 0
    .kernarg_segment_align: 8
    .kernarg_segment_size: 368
    .language:       OpenCL C
    .language_version:
      - 2
      - 0
    .max_flat_workgroup_size: 256
    .name:           _ZL19rocblas_dgmm_kernelILi16ELi16ELb1EPKPK19rocblas_complex_numIfEPKPS1_EviiT2_lllS9_lllT3_llli
    .private_segment_fixed_size: 0
    .sgpr_count:     34
    .sgpr_spill_count: 0
    .symbol:         _ZL19rocblas_dgmm_kernelILi16ELi16ELb1EPKPK19rocblas_complex_numIfEPKPS1_EviiT2_lllS9_lllT3_llli.kd
    .uniform_work_group_size: 1
    .uses_dynamic_stack: false
    .vgpr_count:     20
    .vgpr_spill_count: 0
    .wavefront_size: 32
  - .args:
      - .offset:         0
        .size:           4
        .value_kind:     by_value
      - .offset:         4
        .size:           4
        .value_kind:     by_value
      - .address_space:  global
        .offset:         8
        .size:           8
        .value_kind:     global_buffer
      - .offset:         16
        .size:           8
        .value_kind:     by_value
      - .offset:         24
        .size:           8
        .value_kind:     by_value
      - .offset:         32
        .size:           8
        .value_kind:     by_value
      - .address_space:  global
        .offset:         40
        .size:           8
        .value_kind:     global_buffer
      - .offset:         48
        .size:           8
        .value_kind:     by_value
      - .offset:         56
        .size:           8
        .value_kind:     by_value
      - .offset:         64
        .size:           8
        .value_kind:     by_value
      - .address_space:  global
        .offset:         72
        .size:           8
        .value_kind:     global_buffer
      - .offset:         80
        .size:           8
        .value_kind:     by_value
      - .offset:         88
        .size:           8
        .value_kind:     by_value
      - .offset:         96
        .size:           8
        .value_kind:     by_value
    .group_segment_fixed_size: 0
    .kernarg_segment_align: 8
    .kernarg_segment_size: 104
    .language:       OpenCL C
    .language_version:
      - 2
      - 0
    .max_flat_workgroup_size: 1024
    .name:           _ZL26rocblas_dgmm_gfx942_kernelILi32ELi32ELb0EPKPK19rocblas_complex_numIdEPKPS1_EviiT2_lllS9_lllT3_lll
    .private_segment_fixed_size: 0
    .sgpr_count:     0
    .sgpr_spill_count: 0
    .symbol:         _ZL26rocblas_dgmm_gfx942_kernelILi32ELi32ELb0EPKPK19rocblas_complex_numIdEPKPS1_EviiT2_lllS9_lllT3_lll.kd
    .uniform_work_group_size: 1
    .uses_dynamic_stack: false
    .vgpr_count:     0
    .vgpr_spill_count: 0
    .wavefront_size: 32
  - .args:
      - .offset:         0
        .size:           4
        .value_kind:     by_value
      - .offset:         4
        .size:           4
        .value_kind:     by_value
      - .address_space:  global
        .offset:         8
        .size:           8
        .value_kind:     global_buffer
      - .offset:         16
        .size:           8
        .value_kind:     by_value
      - .offset:         24
        .size:           8
        .value_kind:     by_value
      - .offset:         32
        .size:           8
        .value_kind:     by_value
      - .address_space:  global
        .offset:         40
        .size:           8
        .value_kind:     global_buffer
      - .offset:         48
        .size:           8
        .value_kind:     by_value
      - .offset:         56
        .size:           8
        .value_kind:     by_value
      - .offset:         64
        .size:           8
        .value_kind:     by_value
      - .address_space:  global
        .offset:         72
        .size:           8
        .value_kind:     global_buffer
      - .offset:         80
        .size:           8
        .value_kind:     by_value
      - .offset:         88
        .size:           8
        .value_kind:     by_value
      - .offset:         96
        .size:           8
        .value_kind:     by_value
      - .offset:         104
        .size:           4
        .value_kind:     by_value
      - .offset:         112
        .size:           4
        .value_kind:     hidden_block_count_x
      - .offset:         116
        .size:           4
        .value_kind:     hidden_block_count_y
      - .offset:         120
        .size:           4
        .value_kind:     hidden_block_count_z
      - .offset:         124
        .size:           2
        .value_kind:     hidden_group_size_x
      - .offset:         126
        .size:           2
        .value_kind:     hidden_group_size_y
      - .offset:         128
        .size:           2
        .value_kind:     hidden_group_size_z
      - .offset:         130
        .size:           2
        .value_kind:     hidden_remainder_x
      - .offset:         132
        .size:           2
        .value_kind:     hidden_remainder_y
      - .offset:         134
        .size:           2
        .value_kind:     hidden_remainder_z
      - .offset:         152
        .size:           8
        .value_kind:     hidden_global_offset_x
      - .offset:         160
        .size:           8
        .value_kind:     hidden_global_offset_y
      - .offset:         168
        .size:           8
        .value_kind:     hidden_global_offset_z
      - .offset:         176
        .size:           2
        .value_kind:     hidden_grid_dims
    .group_segment_fixed_size: 0
    .kernarg_segment_align: 8
    .kernarg_segment_size: 368
    .language:       OpenCL C
    .language_version:
      - 2
      - 0
    .max_flat_workgroup_size: 256
    .name:           _ZL19rocblas_dgmm_kernelILi16ELi16ELb0EPKPK19rocblas_complex_numIdEPKPS1_EviiT2_lllS9_lllT3_llli
    .private_segment_fixed_size: 0
    .sgpr_count:     32
    .sgpr_spill_count: 0
    .symbol:         _ZL19rocblas_dgmm_kernelILi16ELi16ELb0EPKPK19rocblas_complex_numIdEPKPS1_EviiT2_lllS9_lllT3_llli.kd
    .uniform_work_group_size: 1
    .uses_dynamic_stack: false
    .vgpr_count:     28
    .vgpr_spill_count: 0
    .wavefront_size: 32
  - .args:
      - .offset:         0
        .size:           4
        .value_kind:     by_value
      - .offset:         4
        .size:           4
        .value_kind:     by_value
      - .address_space:  global
        .offset:         8
        .size:           8
        .value_kind:     global_buffer
      - .offset:         16
        .size:           8
        .value_kind:     by_value
      - .offset:         24
        .size:           8
        .value_kind:     by_value
      - .offset:         32
        .size:           8
        .value_kind:     by_value
      - .address_space:  global
        .offset:         40
        .size:           8
        .value_kind:     global_buffer
      - .offset:         48
        .size:           8
        .value_kind:     by_value
      - .offset:         56
        .size:           8
        .value_kind:     by_value
      - .offset:         64
        .size:           8
        .value_kind:     by_value
      - .address_space:  global
        .offset:         72
        .size:           8
        .value_kind:     global_buffer
      - .offset:         80
        .size:           8
        .value_kind:     by_value
      - .offset:         88
        .size:           8
        .value_kind:     by_value
      - .offset:         96
        .size:           8
        .value_kind:     by_value
    .group_segment_fixed_size: 0
    .kernarg_segment_align: 8
    .kernarg_segment_size: 104
    .language:       OpenCL C
    .language_version:
      - 2
      - 0
    .max_flat_workgroup_size: 1024
    .name:           _ZL26rocblas_dgmm_gfx942_kernelILi32ELi32ELb1EPKPK19rocblas_complex_numIdEPKPS1_EviiT2_lllS9_lllT3_lll
    .private_segment_fixed_size: 0
    .sgpr_count:     0
    .sgpr_spill_count: 0
    .symbol:         _ZL26rocblas_dgmm_gfx942_kernelILi32ELi32ELb1EPKPK19rocblas_complex_numIdEPKPS1_EviiT2_lllS9_lllT3_lll.kd
    .uniform_work_group_size: 1
    .uses_dynamic_stack: false
    .vgpr_count:     0
    .vgpr_spill_count: 0
    .wavefront_size: 32
  - .args:
      - .offset:         0
        .size:           4
        .value_kind:     by_value
      - .offset:         4
        .size:           4
        .value_kind:     by_value
      - .address_space:  global
        .offset:         8
        .size:           8
        .value_kind:     global_buffer
      - .offset:         16
        .size:           8
        .value_kind:     by_value
      - .offset:         24
        .size:           8
        .value_kind:     by_value
      - .offset:         32
        .size:           8
        .value_kind:     by_value
      - .address_space:  global
        .offset:         40
        .size:           8
        .value_kind:     global_buffer
      - .offset:         48
        .size:           8
        .value_kind:     by_value
      - .offset:         56
        .size:           8
        .value_kind:     by_value
      - .offset:         64
        .size:           8
        .value_kind:     by_value
      - .address_space:  global
        .offset:         72
        .size:           8
        .value_kind:     global_buffer
      - .offset:         80
        .size:           8
        .value_kind:     by_value
      - .offset:         88
        .size:           8
        .value_kind:     by_value
      - .offset:         96
        .size:           8
        .value_kind:     by_value
      - .offset:         104
        .size:           4
        .value_kind:     by_value
      - .offset:         112
        .size:           4
        .value_kind:     hidden_block_count_x
      - .offset:         116
        .size:           4
        .value_kind:     hidden_block_count_y
      - .offset:         120
        .size:           4
        .value_kind:     hidden_block_count_z
      - .offset:         124
        .size:           2
        .value_kind:     hidden_group_size_x
      - .offset:         126
        .size:           2
        .value_kind:     hidden_group_size_y
      - .offset:         128
        .size:           2
        .value_kind:     hidden_group_size_z
      - .offset:         130
        .size:           2
        .value_kind:     hidden_remainder_x
      - .offset:         132
        .size:           2
        .value_kind:     hidden_remainder_y
      - .offset:         134
        .size:           2
        .value_kind:     hidden_remainder_z
      - .offset:         152
        .size:           8
        .value_kind:     hidden_global_offset_x
      - .offset:         160
        .size:           8
        .value_kind:     hidden_global_offset_y
      - .offset:         168
        .size:           8
        .value_kind:     hidden_global_offset_z
      - .offset:         176
        .size:           2
        .value_kind:     hidden_grid_dims
    .group_segment_fixed_size: 0
    .kernarg_segment_align: 8
    .kernarg_segment_size: 368
    .language:       OpenCL C
    .language_version:
      - 2
      - 0
    .max_flat_workgroup_size: 256
    .name:           _ZL19rocblas_dgmm_kernelILi16ELi16ELb1EPKPK19rocblas_complex_numIdEPKPS1_EviiT2_lllS9_lllT3_llli
    .private_segment_fixed_size: 0
    .sgpr_count:     34
    .sgpr_spill_count: 0
    .symbol:         _ZL19rocblas_dgmm_kernelILi16ELi16ELb1EPKPK19rocblas_complex_numIdEPKPS1_EviiT2_lllS9_lllT3_llli.kd
    .uniform_work_group_size: 1
    .uses_dynamic_stack: false
    .vgpr_count:     24
    .vgpr_spill_count: 0
    .wavefront_size: 32
amdhsa.target:   amdgcn-amd-amdhsa--gfx1250
amdhsa.version:
  - 1
  - 2
...

	.end_amdgpu_metadata
